;; amdgpu-corpus repo=ROCm/rocFFT kind=compiled arch=gfx1201 opt=O3
	.text
	.amdgcn_target "amdgcn-amd-amdhsa--gfx1201"
	.amdhsa_code_object_version 6
	.protected	fft_rtc_fwd_len3200_factors_10_10_4_4_2_wgs_160_tpt_160_halfLds_dp_op_CI_CI_unitstride_sbrr_R2C_dirReg ; -- Begin function fft_rtc_fwd_len3200_factors_10_10_4_4_2_wgs_160_tpt_160_halfLds_dp_op_CI_CI_unitstride_sbrr_R2C_dirReg
	.globl	fft_rtc_fwd_len3200_factors_10_10_4_4_2_wgs_160_tpt_160_halfLds_dp_op_CI_CI_unitstride_sbrr_R2C_dirReg
	.p2align	8
	.type	fft_rtc_fwd_len3200_factors_10_10_4_4_2_wgs_160_tpt_160_halfLds_dp_op_CI_CI_unitstride_sbrr_R2C_dirReg,@function
fft_rtc_fwd_len3200_factors_10_10_4_4_2_wgs_160_tpt_160_halfLds_dp_op_CI_CI_unitstride_sbrr_R2C_dirReg: ; @fft_rtc_fwd_len3200_factors_10_10_4_4_2_wgs_160_tpt_160_halfLds_dp_op_CI_CI_unitstride_sbrr_R2C_dirReg
; %bb.0:
	s_clause 0x2
	s_load_b128 s[8:11], s[0:1], 0x0
	s_load_b128 s[4:7], s[0:1], 0x58
	;; [unrolled: 1-line block ×3, first 2 shown]
	v_mul_u32_u24_e32 v1, 0x19a, v0
	v_mov_b32_e32 v3, 0
	s_delay_alu instid0(VALU_DEP_2) | instskip(NEXT) | instid1(VALU_DEP_1)
	v_lshrrev_b32_e32 v1, 16, v1
	v_add_nc_u32_e32 v5, ttmp9, v1
	v_mov_b32_e32 v1, 0
	v_mov_b32_e32 v2, 0
	;; [unrolled: 1-line block ×3, first 2 shown]
	s_wait_kmcnt 0x0
	v_cmp_lt_u64_e64 s2, s[10:11], 2
	s_delay_alu instid0(VALU_DEP_1)
	s_and_b32 vcc_lo, exec_lo, s2
	s_cbranch_vccnz .LBB0_8
; %bb.1:
	s_load_b64 s[2:3], s[0:1], 0x10
	v_mov_b32_e32 v1, 0
	v_mov_b32_e32 v2, 0
	s_add_nc_u64 s[16:17], s[14:15], 8
	s_add_nc_u64 s[18:19], s[12:13], 8
	s_mov_b64 s[20:21], 1
	s_delay_alu instid0(VALU_DEP_1)
	v_dual_mov_b32 v11, v2 :: v_dual_mov_b32 v10, v1
	s_wait_kmcnt 0x0
	s_add_nc_u64 s[22:23], s[2:3], 8
	s_mov_b32 s3, 0
.LBB0_2:                                ; =>This Inner Loop Header: Depth=1
	s_load_b64 s[24:25], s[22:23], 0x0
                                        ; implicit-def: $vgpr12_vgpr13
	s_mov_b32 s2, exec_lo
	s_wait_kmcnt 0x0
	v_or_b32_e32 v4, s25, v6
	s_delay_alu instid0(VALU_DEP_1)
	v_cmpx_ne_u64_e32 0, v[3:4]
	s_wait_alu 0xfffe
	s_xor_b32 s26, exec_lo, s2
	s_cbranch_execz .LBB0_4
; %bb.3:                                ;   in Loop: Header=BB0_2 Depth=1
	s_cvt_f32_u32 s2, s24
	s_cvt_f32_u32 s27, s25
	s_sub_nc_u64 s[30:31], 0, s[24:25]
	s_wait_alu 0xfffe
	s_delay_alu instid0(SALU_CYCLE_1) | instskip(SKIP_1) | instid1(SALU_CYCLE_2)
	s_fmamk_f32 s2, s27, 0x4f800000, s2
	s_wait_alu 0xfffe
	v_s_rcp_f32 s2, s2
	s_delay_alu instid0(TRANS32_DEP_1) | instskip(SKIP_1) | instid1(SALU_CYCLE_2)
	s_mul_f32 s2, s2, 0x5f7ffffc
	s_wait_alu 0xfffe
	s_mul_f32 s27, s2, 0x2f800000
	s_wait_alu 0xfffe
	s_delay_alu instid0(SALU_CYCLE_2) | instskip(SKIP_1) | instid1(SALU_CYCLE_2)
	s_trunc_f32 s27, s27
	s_wait_alu 0xfffe
	s_fmamk_f32 s2, s27, 0xcf800000, s2
	s_cvt_u32_f32 s29, s27
	s_wait_alu 0xfffe
	s_delay_alu instid0(SALU_CYCLE_1) | instskip(SKIP_1) | instid1(SALU_CYCLE_2)
	s_cvt_u32_f32 s28, s2
	s_wait_alu 0xfffe
	s_mul_u64 s[34:35], s[30:31], s[28:29]
	s_wait_alu 0xfffe
	s_mul_hi_u32 s37, s28, s35
	s_mul_i32 s36, s28, s35
	s_mul_hi_u32 s2, s28, s34
	s_mul_i32 s33, s29, s34
	s_wait_alu 0xfffe
	s_add_nc_u64 s[36:37], s[2:3], s[36:37]
	s_mul_hi_u32 s27, s29, s34
	s_mul_hi_u32 s38, s29, s35
	s_add_co_u32 s2, s36, s33
	s_wait_alu 0xfffe
	s_add_co_ci_u32 s2, s37, s27
	s_mul_i32 s34, s29, s35
	s_add_co_ci_u32 s35, s38, 0
	s_wait_alu 0xfffe
	s_add_nc_u64 s[34:35], s[2:3], s[34:35]
	s_wait_alu 0xfffe
	v_add_co_u32 v4, s2, s28, s34
	s_delay_alu instid0(VALU_DEP_1) | instskip(SKIP_1) | instid1(VALU_DEP_1)
	s_cmp_lg_u32 s2, 0
	s_add_co_ci_u32 s29, s29, s35
	v_readfirstlane_b32 s28, v4
	s_wait_alu 0xfffe
	s_delay_alu instid0(VALU_DEP_1)
	s_mul_u64 s[30:31], s[30:31], s[28:29]
	s_wait_alu 0xfffe
	s_mul_hi_u32 s35, s28, s31
	s_mul_i32 s34, s28, s31
	s_mul_hi_u32 s2, s28, s30
	s_mul_i32 s33, s29, s30
	s_wait_alu 0xfffe
	s_add_nc_u64 s[34:35], s[2:3], s[34:35]
	s_mul_hi_u32 s27, s29, s30
	s_mul_hi_u32 s28, s29, s31
	s_wait_alu 0xfffe
	s_add_co_u32 s2, s34, s33
	s_add_co_ci_u32 s2, s35, s27
	s_mul_i32 s30, s29, s31
	s_add_co_ci_u32 s31, s28, 0
	s_wait_alu 0xfffe
	s_add_nc_u64 s[30:31], s[2:3], s[30:31]
	s_wait_alu 0xfffe
	v_add_co_u32 v4, s2, v4, s30
	s_delay_alu instid0(VALU_DEP_1) | instskip(SKIP_1) | instid1(VALU_DEP_1)
	s_cmp_lg_u32 s2, 0
	s_add_co_ci_u32 s2, s29, s31
	v_mul_hi_u32 v9, v5, v4
	s_wait_alu 0xfffe
	v_mad_co_u64_u32 v[7:8], null, v5, s2, 0
	v_mad_co_u64_u32 v[12:13], null, v6, v4, 0
	;; [unrolled: 1-line block ×3, first 2 shown]
	s_delay_alu instid0(VALU_DEP_3) | instskip(SKIP_1) | instid1(VALU_DEP_4)
	v_add_co_u32 v4, vcc_lo, v9, v7
	s_wait_alu 0xfffd
	v_add_co_ci_u32_e32 v7, vcc_lo, 0, v8, vcc_lo
	s_delay_alu instid0(VALU_DEP_2) | instskip(SKIP_1) | instid1(VALU_DEP_2)
	v_add_co_u32 v4, vcc_lo, v4, v12
	s_wait_alu 0xfffd
	v_add_co_ci_u32_e32 v4, vcc_lo, v7, v13, vcc_lo
	s_wait_alu 0xfffd
	v_add_co_ci_u32_e32 v7, vcc_lo, 0, v15, vcc_lo
	s_delay_alu instid0(VALU_DEP_2) | instskip(SKIP_1) | instid1(VALU_DEP_2)
	v_add_co_u32 v4, vcc_lo, v4, v14
	s_wait_alu 0xfffd
	v_add_co_ci_u32_e32 v9, vcc_lo, 0, v7, vcc_lo
	s_delay_alu instid0(VALU_DEP_2) | instskip(SKIP_1) | instid1(VALU_DEP_3)
	v_mul_lo_u32 v12, s25, v4
	v_mad_co_u64_u32 v[7:8], null, s24, v4, 0
	v_mul_lo_u32 v13, s24, v9
	s_delay_alu instid0(VALU_DEP_2) | instskip(NEXT) | instid1(VALU_DEP_2)
	v_sub_co_u32 v7, vcc_lo, v5, v7
	v_add3_u32 v8, v8, v13, v12
	s_delay_alu instid0(VALU_DEP_1) | instskip(SKIP_1) | instid1(VALU_DEP_1)
	v_sub_nc_u32_e32 v12, v6, v8
	s_wait_alu 0xfffd
	v_subrev_co_ci_u32_e64 v12, s2, s25, v12, vcc_lo
	v_add_co_u32 v13, s2, v4, 2
	s_wait_alu 0xf1ff
	v_add_co_ci_u32_e64 v14, s2, 0, v9, s2
	v_sub_co_u32 v15, s2, v7, s24
	v_sub_co_ci_u32_e32 v8, vcc_lo, v6, v8, vcc_lo
	s_wait_alu 0xf1ff
	v_subrev_co_ci_u32_e64 v12, s2, 0, v12, s2
	s_delay_alu instid0(VALU_DEP_3) | instskip(NEXT) | instid1(VALU_DEP_3)
	v_cmp_le_u32_e32 vcc_lo, s24, v15
	v_cmp_eq_u32_e64 s2, s25, v8
	s_wait_alu 0xfffd
	v_cndmask_b32_e64 v15, 0, -1, vcc_lo
	v_cmp_le_u32_e32 vcc_lo, s25, v12
	s_wait_alu 0xfffd
	v_cndmask_b32_e64 v16, 0, -1, vcc_lo
	v_cmp_le_u32_e32 vcc_lo, s24, v7
	;; [unrolled: 3-line block ×3, first 2 shown]
	s_wait_alu 0xfffd
	v_cndmask_b32_e64 v17, 0, -1, vcc_lo
	v_cmp_eq_u32_e32 vcc_lo, s25, v12
	s_wait_alu 0xf1ff
	s_delay_alu instid0(VALU_DEP_2)
	v_cndmask_b32_e64 v7, v17, v7, s2
	s_wait_alu 0xfffd
	v_cndmask_b32_e32 v12, v16, v15, vcc_lo
	v_add_co_u32 v15, vcc_lo, v4, 1
	s_wait_alu 0xfffd
	v_add_co_ci_u32_e32 v16, vcc_lo, 0, v9, vcc_lo
	s_delay_alu instid0(VALU_DEP_3) | instskip(SKIP_1) | instid1(VALU_DEP_2)
	v_cmp_ne_u32_e32 vcc_lo, 0, v12
	s_wait_alu 0xfffd
	v_cndmask_b32_e32 v8, v16, v14, vcc_lo
	v_cndmask_b32_e32 v12, v15, v13, vcc_lo
	v_cmp_ne_u32_e32 vcc_lo, 0, v7
	s_wait_alu 0xfffd
	s_delay_alu instid0(VALU_DEP_3) | instskip(NEXT) | instid1(VALU_DEP_3)
	v_cndmask_b32_e32 v13, v9, v8, vcc_lo
	v_cndmask_b32_e32 v12, v4, v12, vcc_lo
.LBB0_4:                                ;   in Loop: Header=BB0_2 Depth=1
	s_wait_alu 0xfffe
	s_and_not1_saveexec_b32 s2, s26
	s_cbranch_execz .LBB0_6
; %bb.5:                                ;   in Loop: Header=BB0_2 Depth=1
	v_cvt_f32_u32_e32 v4, s24
	s_sub_co_i32 s26, 0, s24
	v_mov_b32_e32 v13, v3
	s_delay_alu instid0(VALU_DEP_2) | instskip(NEXT) | instid1(TRANS32_DEP_1)
	v_rcp_iflag_f32_e32 v4, v4
	v_mul_f32_e32 v4, 0x4f7ffffe, v4
	s_delay_alu instid0(VALU_DEP_1) | instskip(SKIP_1) | instid1(VALU_DEP_1)
	v_cvt_u32_f32_e32 v4, v4
	s_wait_alu 0xfffe
	v_mul_lo_u32 v7, s26, v4
	s_delay_alu instid0(VALU_DEP_1) | instskip(NEXT) | instid1(VALU_DEP_1)
	v_mul_hi_u32 v7, v4, v7
	v_add_nc_u32_e32 v4, v4, v7
	s_delay_alu instid0(VALU_DEP_1) | instskip(NEXT) | instid1(VALU_DEP_1)
	v_mul_hi_u32 v4, v5, v4
	v_mul_lo_u32 v7, v4, s24
	v_add_nc_u32_e32 v8, 1, v4
	s_delay_alu instid0(VALU_DEP_2) | instskip(NEXT) | instid1(VALU_DEP_1)
	v_sub_nc_u32_e32 v7, v5, v7
	v_subrev_nc_u32_e32 v9, s24, v7
	v_cmp_le_u32_e32 vcc_lo, s24, v7
	s_wait_alu 0xfffd
	s_delay_alu instid0(VALU_DEP_2) | instskip(NEXT) | instid1(VALU_DEP_1)
	v_dual_cndmask_b32 v7, v7, v9 :: v_dual_cndmask_b32 v4, v4, v8
	v_cmp_le_u32_e32 vcc_lo, s24, v7
	s_delay_alu instid0(VALU_DEP_2) | instskip(SKIP_1) | instid1(VALU_DEP_1)
	v_add_nc_u32_e32 v8, 1, v4
	s_wait_alu 0xfffd
	v_cndmask_b32_e32 v12, v4, v8, vcc_lo
.LBB0_6:                                ;   in Loop: Header=BB0_2 Depth=1
	s_wait_alu 0xfffe
	s_or_b32 exec_lo, exec_lo, s2
	v_mul_lo_u32 v4, v13, s24
	s_delay_alu instid0(VALU_DEP_2)
	v_mul_lo_u32 v9, v12, s25
	s_load_b64 s[26:27], s[18:19], 0x0
	v_mad_co_u64_u32 v[7:8], null, v12, s24, 0
	s_load_b64 s[24:25], s[16:17], 0x0
	s_add_nc_u64 s[20:21], s[20:21], 1
	s_add_nc_u64 s[16:17], s[16:17], 8
	s_wait_alu 0xfffe
	v_cmp_ge_u64_e64 s2, s[20:21], s[10:11]
	s_add_nc_u64 s[18:19], s[18:19], 8
	s_add_nc_u64 s[22:23], s[22:23], 8
	v_add3_u32 v4, v8, v9, v4
	v_sub_co_u32 v5, vcc_lo, v5, v7
	s_wait_alu 0xfffd
	s_delay_alu instid0(VALU_DEP_2) | instskip(SKIP_2) | instid1(VALU_DEP_1)
	v_sub_co_ci_u32_e32 v4, vcc_lo, v6, v4, vcc_lo
	s_and_b32 vcc_lo, exec_lo, s2
	s_wait_kmcnt 0x0
	v_mul_lo_u32 v6, s26, v4
	v_mul_lo_u32 v7, s27, v5
	v_mad_co_u64_u32 v[1:2], null, s26, v5, v[1:2]
	v_mul_lo_u32 v4, s24, v4
	v_mul_lo_u32 v8, s25, v5
	v_mad_co_u64_u32 v[10:11], null, s24, v5, v[10:11]
	s_delay_alu instid0(VALU_DEP_4) | instskip(NEXT) | instid1(VALU_DEP_2)
	v_add3_u32 v2, v7, v2, v6
	v_add3_u32 v11, v8, v11, v4
	s_wait_alu 0xfffe
	s_cbranch_vccnz .LBB0_9
; %bb.7:                                ;   in Loop: Header=BB0_2 Depth=1
	v_dual_mov_b32 v5, v12 :: v_dual_mov_b32 v6, v13
	s_branch .LBB0_2
.LBB0_8:
	v_dual_mov_b32 v11, v2 :: v_dual_mov_b32 v10, v1
	v_dual_mov_b32 v13, v6 :: v_dual_mov_b32 v12, v5
.LBB0_9:
	s_load_b64 s[0:1], s[0:1], 0x28
	v_mul_hi_u32 v3, 0x199999a, v0
	s_lshl_b64 s[10:11], s[10:11], 3
                                        ; implicit-def: $vgpr8
                                        ; implicit-def: $vgpr14
                                        ; implicit-def: $vgpr30
                                        ; implicit-def: $vgpr26
                                        ; implicit-def: $vgpr22
                                        ; implicit-def: $vgpr20
                                        ; implicit-def: $vgpr24
                                        ; implicit-def: $vgpr28
                                        ; implicit-def: $vgpr16
                                        ; implicit-def: $vgpr18
	s_wait_kmcnt 0x0
	v_cmp_gt_u64_e32 vcc_lo, s[0:1], v[12:13]
	v_cmp_le_u64_e64 s0, s[0:1], v[12:13]
	s_delay_alu instid0(VALU_DEP_1)
	s_and_saveexec_b32 s1, s0
	s_wait_alu 0xfffe
	s_xor_b32 s0, exec_lo, s1
	s_cbranch_execz .LBB0_11
; %bb.10:
	v_mul_u32_u24_e32 v1, 0xa0, v3
                                        ; implicit-def: $vgpr3
	s_delay_alu instid0(VALU_DEP_1) | instskip(SKIP_1) | instid1(VALU_DEP_2)
	v_sub_nc_u32_e32 v8, v0, v1
	v_mov_b32_e32 v9, 0
                                        ; implicit-def: $vgpr0
                                        ; implicit-def: $vgpr1_vgpr2
	v_add_nc_u32_e32 v14, 0xa0, v8
	s_delay_alu instid0(VALU_DEP_2)
	v_dual_mov_b32 v15, v9 :: v_dual_add_nc_u32 v30, 0x140, v8
	v_dual_mov_b32 v31, v9 :: v_dual_add_nc_u32 v26, 0x280, v8
	;; [unrolled: 1-line block ×3, first 2 shown]
	v_or_b32_e32 v20, 0x500, v8
	v_dual_mov_b32 v27, v9 :: v_dual_add_nc_u32 v24, 0x320, v8
	v_dual_mov_b32 v25, v9 :: v_dual_add_nc_u32 v28, 0x1e0, v8
	;; [unrolled: 1-line block ×4, first 2 shown]
	v_mov_b32_e32 v21, v9
	v_mov_b32_e32 v19, v9
.LBB0_11:
	s_wait_alu 0xfffe
	s_or_saveexec_b32 s1, s0
	s_add_nc_u64 s[2:3], s[14:15], s[10:11]
	s_wait_alu 0xfffe
	s_xor_b32 exec_lo, exec_lo, s1
	s_cbranch_execz .LBB0_13
; %bb.12:
	s_add_nc_u64 s[10:11], s[12:13], s[10:11]
	v_lshlrev_b64_e32 v[1:2], 4, v[1:2]
	s_load_b64 s[10:11], s[10:11], 0x0
	v_mov_b32_e32 v9, 0
	s_wait_kmcnt 0x0
	v_mul_lo_u32 v6, s11, v12
	v_mul_lo_u32 v7, s10, v13
	v_mad_co_u64_u32 v[4:5], null, s10, v12, 0
	s_delay_alu instid0(VALU_DEP_1) | instskip(SKIP_1) | instid1(VALU_DEP_2)
	v_add3_u32 v5, v5, v7, v6
	v_mul_u32_u24_e32 v6, 0xa0, v3
	v_lshlrev_b64_e32 v[3:4], 4, v[4:5]
	s_delay_alu instid0(VALU_DEP_2) | instskip(SKIP_3) | instid1(VALU_DEP_4)
	v_sub_nc_u32_e32 v8, v0, v6
	v_mov_b32_e32 v31, v9
	v_mov_b32_e32 v29, v9
	;; [unrolled: 1-line block ×3, first 2 shown]
	v_dual_mov_b32 v25, v9 :: v_dual_add_nc_u32 v24, 0x320, v8
	v_add_co_u32 v0, s0, s4, v3
	s_wait_alu 0xf1ff
	v_add_co_ci_u32_e64 v3, s0, s5, v4, s0
	v_lshlrev_b32_e32 v16, 4, v8
	s_delay_alu instid0(VALU_DEP_3) | instskip(SKIP_1) | instid1(VALU_DEP_3)
	v_add_co_u32 v0, s0, v0, v1
	s_wait_alu 0xf1ff
	v_add_co_ci_u32_e64 v1, s0, v3, v2, s0
	s_delay_alu instid0(VALU_DEP_3) | instskip(NEXT) | instid1(VALU_DEP_3)
	v_dual_mov_b32 v23, v9 :: v_dual_add_nc_u32 v104, 0, v16
	v_add_co_u32 v14, s0, v0, v16
	s_wait_alu 0xf1ff
	s_delay_alu instid0(VALU_DEP_3)
	v_add_co_ci_u32_e64 v15, s0, 0, v1, s0
	s_clause 0x13
	global_load_b128 v[0:3], v[14:15], off offset:2560
	global_load_b128 v[4:7], v[14:15], off offset:5120
	;; [unrolled: 1-line block ×18, first 2 shown]
	global_load_b128 v[96:99], v[14:15], off
	global_load_b128 v[100:103], v[14:15], off offset:48640
	v_dual_mov_b32 v15, v9 :: v_dual_add_nc_u32 v14, 0xa0, v8
	v_dual_mov_b32 v17, v9 :: v_dual_add_nc_u32 v22, 0x3c0, v8
	;; [unrolled: 1-line block ×4, first 2 shown]
	v_add_nc_u32_e32 v30, 0x140, v8
	v_add_nc_u32_e32 v28, 0x1e0, v8
	;; [unrolled: 1-line block ×3, first 2 shown]
	v_or_b32_e32 v20, 0x500, v8
	s_wait_loadcnt 0x13
	ds_store_b128 v104, v[0:3] offset:2560
	s_wait_loadcnt 0x12
	ds_store_b128 v104, v[4:7] offset:5120
	;; [unrolled: 2-line block ×18, first 2 shown]
	s_wait_loadcnt 0x1
	ds_store_b128 v104, v[96:99]
	s_wait_loadcnt 0x0
	ds_store_b128 v104, v[100:103] offset:48640
.LBB0_13:
	s_or_b32 exec_lo, exec_lo, s1
	v_lshlrev_b32_e32 v177, 4, v8
	s_load_b64 s[2:3], s[2:3], 0x0
	global_wb scope:SCOPE_SE
	s_wait_dscnt 0x0
	s_wait_kmcnt 0x0
	s_barrier_signal -1
	s_barrier_wait -1
	v_add_nc_u32_e32 v176, 0, v177
	global_inv scope:SCOPE_SE
	s_mov_b32 s4, 0x134454ff
	s_mov_b32 s5, 0x3fee6f0e
	;; [unrolled: 1-line block ×3, first 2 shown]
	ds_load_b128 v[4:7], v176 offset:15360
	ds_load_b128 v[0:3], v176 offset:46080
	ds_load_b128 v[32:35], v176
	ds_load_b128 v[36:39], v176 offset:10240
	ds_load_b128 v[40:43], v176 offset:25600
	;; [unrolled: 1-line block ×17, first 2 shown]
	s_wait_alu 0xfffe
	s_mov_b32 s10, s4
	s_mov_b32 s12, 0x4755a5e
	;; [unrolled: 1-line block ×9, first 2 shown]
	global_wb scope:SCOPE_SE
	s_wait_dscnt 0x0
	v_add_f64_e32 v[106:107], v[32:33], v[36:37]
	v_add_f64_e32 v[108:109], v[34:35], v[38:39]
	s_barrier_signal -1
	v_add_f64_e32 v[112:113], v[40:41], v[48:49]
	v_add_f64_e32 v[114:115], v[46:47], v[6:7]
	;; [unrolled: 1-line block ×16, first 2 shown]
	v_add_f64_e64 v[178:179], v[6:7], -v[42:43]
	v_add_f64_e64 v[180:181], v[42:43], -v[6:7]
	v_add_f64_e64 v[6:7], v[6:7], -v[2:3]
	v_add_f64_e32 v[124:125], v[38:39], v[62:63]
	v_add_f64_e32 v[126:127], v[64:65], v[68:69]
	;; [unrolled: 1-line block ×4, first 2 shown]
	v_add_f64_e64 v[152:153], v[36:37], -v[52:53]
	v_add_f64_e64 v[154:155], v[60:61], -v[56:57]
	;; [unrolled: 1-line block ×7, first 2 shown]
	v_add_f64_e32 v[166:167], v[100:101], v[96:97]
	v_add_f64_e32 v[168:169], v[102:103], v[98:99]
	v_add_f64_e64 v[170:171], v[4:5], -v[40:41]
	v_add_f64_e64 v[172:173], v[40:41], -v[4:5]
	;; [unrolled: 1-line block ×7, first 2 shown]
	v_add_f64_e32 v[52:53], v[106:107], v[52:53]
	v_fma_f64 v[104:105], v[104:105], -0.5, v[44:45]
	v_fma_f64 v[44:45], v[112:113], -0.5, v[44:45]
	v_add_f64_e64 v[112:113], v[0:1], -v[48:49]
	v_add_f64_e64 v[106:107], v[90:91], -v[94:95]
	v_fma_f64 v[122:123], v[122:123], -0.5, v[46:47]
	v_add_f64_e32 v[42:43], v[114:115], v[42:43]
	v_add_f64_e64 v[114:115], v[88:89], -v[92:93]
	v_fma_f64 v[46:47], v[130:131], -0.5, v[46:47]
	v_add_f64_e64 v[190:191], v[98:99], -v[86:87]
	v_fma_f64 v[116:117], v[116:117], -0.5, v[32:33]
	v_fma_f64 v[142:143], v[142:143], -0.5, v[100:101]
	v_fma_f64 v[32:33], v[118:119], -0.5, v[32:33]
	v_fma_f64 v[118:119], v[120:121], -0.5, v[34:35]
	v_fma_f64 v[100:101], v[144:145], -0.5, v[100:101]
	v_fma_f64 v[120:121], v[148:149], -0.5, v[102:103]
	v_add_f64_e64 v[140:141], v[38:39], -v[62:63]
	v_add_f64_e64 v[150:151], v[54:55], -v[58:59]
	;; [unrolled: 1-line block ×3, first 2 shown]
	v_add_f64_e32 v[54:55], v[108:109], v[54:55]
	v_add_f64_e64 v[108:109], v[96:97], -v[88:89]
	v_add_f64_e32 v[40:41], v[110:111], v[40:41]
	v_add_f64_e64 v[110:111], v[88:89], -v[96:97]
	v_add_f64_e64 v[96:97], v[96:97], -v[84:85]
	v_fma_f64 v[132:133], v[132:133], -0.5, v[64:65]
	v_fma_f64 v[64:65], v[134:135], -0.5, v[64:65]
	;; [unrolled: 1-line block ×3, first 2 shown]
	v_add_f64_e64 v[136:137], v[84:85], -v[92:93]
	v_fma_f64 v[102:103], v[146:147], -0.5, v[102:103]
	v_add_f64_e64 v[130:131], v[98:99], -v[90:91]
	v_fma_f64 v[34:35], v[124:125], -0.5, v[34:35]
	v_add_f64_e64 v[98:99], v[90:91], -v[98:99]
	v_add_f64_e64 v[144:145], v[68:69], -v[76:77]
	v_fma_f64 v[66:67], v[138:139], -0.5, v[66:67]
	v_add_f64_e64 v[138:139], v[76:77], -v[68:69]
	v_add_f64_e64 v[148:149], v[76:77], -v[80:81]
	v_add_f64_e32 v[90:91], v[168:169], v[90:91]
	v_add_f64_e32 v[76:77], v[126:127], v[76:77]
	v_add_f64_e32 v[126:127], v[128:129], v[78:79]
	s_wait_alu 0xfffe
	v_fma_f64 v[124:125], v[162:163], s[10:11], v[104:105]
	v_fma_f64 v[146:147], v[6:7], s[4:5], v[44:45]
	;; [unrolled: 1-line block ×3, first 2 shown]
	v_add_f64_e64 v[128:129], v[92:93], -v[84:85]
	v_fma_f64 v[168:169], v[174:175], s[4:5], v[122:123]
	v_add_f64_e32 v[152:153], v[152:153], v[154:155]
	v_fma_f64 v[122:123], v[174:175], s[10:11], v[122:123]
	v_add_f64_e64 v[154:155], v[86:87], -v[94:95]
	v_fma_f64 v[44:45], v[6:7], s[10:11], v[44:45]
	v_add_f64_e32 v[160:161], v[160:161], v[164:165]
	v_fma_f64 v[164:165], v[4:5], s[4:5], v[46:47]
	v_add_f64_e32 v[112:113], v[170:171], v[112:113]
	v_add_f64_e32 v[170:171], v[178:179], v[184:185]
	v_fma_f64 v[178:179], v[190:191], s[4:5], v[142:143]
	v_add_f64_e64 v[184:185], v[94:95], -v[86:87]
	v_add_f64_e32 v[172:173], v[172:173], v[182:183]
	v_add_f64_e32 v[180:181], v[180:181], v[186:187]
	v_fma_f64 v[182:183], v[106:107], s[10:11], v[100:101]
	v_fma_f64 v[186:187], v[114:115], s[4:5], v[120:121]
	;; [unrolled: 1-line block ×4, first 2 shown]
	v_add_f64_e64 v[36:37], v[36:37], -v[60:61]
	v_fma_f64 v[46:47], v[4:5], s[10:11], v[46:47]
	v_add_f64_e64 v[188:189], v[78:79], -v[82:83]
	v_add_f64_e32 v[88:89], v[166:167], v[88:89]
	v_add_f64_e64 v[166:167], v[70:71], -v[78:79]
	v_add_f64_e32 v[108:109], v[108:109], v[136:137]
	v_fma_f64 v[136:137], v[190:191], s[10:11], v[142:143]
	v_fma_f64 v[142:143], v[96:97], s[4:5], v[102:103]
	v_add_f64_e64 v[78:79], v[78:79], -v[70:71]
	v_add_f64_e64 v[70:71], v[70:71], -v[74:75]
	;; [unrolled: 1-line block ×3, first 2 shown]
	v_fma_f64 v[102:103], v[96:97], s[10:11], v[102:103]
	v_add_f64_e32 v[52:53], v[52:53], v[56:57]
	v_add_f64_e32 v[40:41], v[40:41], v[48:49]
	;; [unrolled: 1-line block ×5, first 2 shown]
	v_fma_f64 v[124:125], v[6:7], s[12:13], v[124:125]
	v_fma_f64 v[146:147], v[162:163], s[12:13], v[146:147]
	;; [unrolled: 1-line block ×3, first 2 shown]
	v_add_f64_e64 v[104:105], v[56:57], -v[60:61]
	v_fma_f64 v[168:169], v[4:5], s[14:15], v[168:169]
	v_add_f64_e32 v[110:111], v[110:111], v[128:129]
	v_fma_f64 v[4:5], v[4:5], s[12:13], v[122:123]
	v_add_f64_e32 v[130:131], v[130:131], v[154:155]
	v_fma_f64 v[44:45], v[162:163], s[14:15], v[44:45]
	v_add_f64_e64 v[122:123], v[58:59], -v[62:63]
	v_fma_f64 v[164:165], v[174:175], s[12:13], v[164:165]
	v_add_f64_e64 v[162:163], v[72:73], -v[80:81]
	v_add_f64_e64 v[128:129], v[74:75], -v[82:83]
	v_fma_f64 v[154:155], v[106:107], s[12:13], v[178:179]
	v_add_f64_e32 v[98:99], v[98:99], v[184:185]
	v_add_f64_e64 v[178:179], v[80:81], -v[72:73]
	v_fma_f64 v[80:81], v[140:141], s[4:5], v[116:117]
	v_fma_f64 v[182:183], v[190:191], s[12:13], v[182:183]
	;; [unrolled: 1-line block ×7, first 2 shown]
	v_add_f64_e64 v[184:185], v[82:83], -v[74:75]
	v_add_f64_e32 v[82:83], v[126:127], v[82:83]
	v_fma_f64 v[120:121], v[150:151], s[10:11], v[32:33]
	v_fma_f64 v[32:33], v[150:151], s[4:5], v[32:33]
	;; [unrolled: 1-line block ×8, first 2 shown]
	v_add_f64_e32 v[88:89], v[88:89], v[92:93]
	v_add_f64_e32 v[90:91], v[90:91], v[94:95]
	v_fma_f64 v[94:95], v[114:115], s[14:15], v[102:103]
	v_fma_f64 v[114:115], v[68:69], s[10:11], v[134:135]
	;; [unrolled: 1-line block ×17, first 2 shown]
	v_add_f64_e32 v[52:53], v[52:53], v[60:61]
	v_add_f64_e32 v[54:55], v[54:55], v[62:63]
	v_fma_f64 v[80:81], v[150:151], s[12:13], v[80:81]
	v_fma_f64 v[154:155], v[110:111], s[16:17], v[182:183]
	;; [unrolled: 1-line block ×5, first 2 shown]
	v_add_f64_e32 v[104:105], v[156:157], v[104:105]
	v_fma_f64 v[46:47], v[170:171], s[16:17], v[46:47]
	v_add_f64_e32 v[38:39], v[38:39], v[122:123]
	v_add_f64_e32 v[128:129], v[166:167], v[128:129]
	;; [unrolled: 1-line block ×3, first 2 shown]
	v_fma_f64 v[32:33], v[140:141], s[14:15], v[32:33]
	v_fma_f64 v[50:51], v[108:109], s[16:17], v[50:51]
	;; [unrolled: 1-line block ×7, first 2 shown]
	v_add_f64_e32 v[126:127], v[144:145], v[162:163]
	v_add_f64_e32 v[78:79], v[78:79], v[184:185]
	v_fma_f64 v[94:95], v[130:131], s[16:17], v[94:95]
	v_fma_f64 v[114:115], v[148:149], s[14:15], v[114:115]
	;; [unrolled: 1-line block ×3, first 2 shown]
	v_mul_f64_e32 v[108:109], s[10:11], v[124:125]
	v_mul_f64_e32 v[60:61], s[18:19], v[96:97]
	;; [unrolled: 1-line block ×3, first 2 shown]
	v_fma_f64 v[96:97], v[158:159], s[14:15], v[100:101]
	v_mul_f64_e32 v[98:99], s[4:5], v[106:107]
	v_fma_f64 v[100:101], v[140:141], s[12:13], v[120:121]
	v_mul_f64_e32 v[36:37], s[16:17], v[6:7]
	v_mul_f64_e32 v[120:121], s[16:17], v[4:5]
	;; [unrolled: 1-line block ×3, first 2 shown]
	v_fma_f64 v[112:113], v[188:189], s[12:13], v[112:113]
	v_mul_f64_e32 v[140:141], s[18:19], v[92:93]
	v_fma_f64 v[142:143], v[68:69], s[14:15], v[142:143]
	v_fma_f64 v[64:65], v[70:71], s[14:15], v[64:65]
	v_mul_f64_e32 v[130:131], s[18:19], v[102:103]
	v_mul_f64_e32 v[102:103], s[14:15], v[102:103]
	v_fma_f64 v[66:67], v[68:69], s[12:13], v[66:67]
	v_fma_f64 v[132:133], v[188:189], s[14:15], v[132:133]
	v_mul_f64_e32 v[150:151], s[10:11], v[154:155]
	v_mul_f64_e32 v[144:145], s[4:5], v[146:147]
	;; [unrolled: 1-line block ×4, first 2 shown]
	v_fma_f64 v[134:135], v[148:149], s[12:13], v[134:135]
	v_add_f64_e32 v[0:1], v[40:41], v[0:1]
	v_add_f64_e32 v[2:3], v[42:43], v[2:3]
	;; [unrolled: 1-line block ×4, first 2 shown]
	v_fma_f64 v[80:81], v[152:153], s[16:17], v[80:81]
	v_mul_f64_e32 v[148:149], s[18:19], v[50:51]
	v_mul_f64_e32 v[156:157], s[18:19], v[58:59]
	v_add_f64_e32 v[74:75], v[82:83], v[74:75]
	v_add_f64_e32 v[82:83], v[90:91], v[86:87]
	s_barrier_wait -1
	global_inv scope:SCOPE_SE
	v_lshl_add_u32 v181, v26, 4, 0
	v_lshl_add_u32 v179, v22, 4, 0
	;; [unrolled: 1-line block ×4, first 2 shown]
	v_cmp_gt_u32_e64 s0, 0x64, v8
	v_fma_f64 v[88:89], v[106:107], s[16:17], v[108:109]
	v_fma_f64 v[60:61], v[46:47], s[12:13], v[60:61]
	;; [unrolled: 1-line block ×9, first 2 shown]
	v_fma_f64 v[4:5], v[4:5], s[4:5], -v[36:37]
	v_fma_f64 v[6:7], v[6:7], s[10:11], -v[120:121]
	v_fma_f64 v[104:105], v[152:153], s[16:17], v[116:117]
	v_fma_f64 v[106:107], v[160:161], s[16:17], v[118:119]
	v_fma_f64 v[92:93], v[92:93], s[12:13], -v[122:123]
	v_fma_f64 v[108:109], v[44:45], s[14:15], -v[140:141]
	v_fma_f64 v[110:111], v[94:95], s[12:13], v[130:131]
	v_fma_f64 v[102:103], v[94:95], s[18:19], v[102:103]
	v_fma_f64 v[94:95], v[126:127], s[16:17], v[112:113]
	v_fma_f64 v[112:113], v[128:129], s[16:17], v[114:115]
	v_fma_f64 v[114:115], v[154:155], s[16:17], v[144:145]
	v_fma_f64 v[116:117], v[146:147], s[16:17], v[150:151]
	v_fma_f64 v[118:119], v[138:139], s[16:17], v[136:137]
	v_fma_f64 v[120:121], v[78:79], s[16:17], v[142:143]
	v_fma_f64 v[122:123], v[138:139], s[16:17], v[64:65]
	v_fma_f64 v[124:125], v[78:79], s[16:17], v[66:67]
	v_fma_f64 v[130:131], v[56:57], s[4:5], -v[68:69]
	v_fma_f64 v[136:137], v[48:49], s[10:11], -v[70:71]
	v_fma_f64 v[126:127], v[126:127], s[16:17], v[132:133]
	v_fma_f64 v[128:129], v[128:129], s[16:17], v[134:135]
	v_fma_f64 v[132:133], v[58:59], s[12:13], -v[148:149]
	v_fma_f64 v[134:135], v[50:51], s[14:15], -v[156:157]
	v_add_f64_e32 v[32:33], v[52:53], v[0:1]
	v_add_f64_e32 v[34:35], v[54:55], v[2:3]
	v_add_f64_e64 v[36:37], v[52:53], -v[0:1]
	v_add_f64_e64 v[38:39], v[54:55], -v[2:3]
	v_add_f64_e32 v[40:41], v[72:73], v[76:77]
	v_add_f64_e32 v[42:43], v[74:75], v[82:83]
	v_add_f64_e64 v[44:45], v[72:73], -v[76:77]
	v_add_f64_e64 v[46:47], v[74:75], -v[82:83]
	v_add_f64_e32 v[48:49], v[80:81], v[60:61]
	v_add_f64_e64 v[52:53], v[80:81], -v[60:61]
	v_add_f64_e32 v[50:51], v[84:85], v[62:63]
	;; [unrolled: 2-line block ×3, first 2 shown]
	v_add_f64_e32 v[58:59], v[96:97], v[88:89]
	v_add_f64_e64 v[60:61], v[90:91], -v[86:87]
	v_add_f64_e64 v[62:63], v[96:97], -v[88:89]
	;; [unrolled: 1-line block ×4, first 2 shown]
	v_add_f64_e32 v[64:65], v[98:99], v[4:5]
	v_add_f64_e32 v[66:67], v[100:101], v[6:7]
	;; [unrolled: 1-line block ×4, first 2 shown]
	v_add_f64_e64 v[76:77], v[104:105], -v[92:93]
	v_add_f64_e64 v[78:79], v[106:107], -v[108:109]
	v_add_f64_e64 v[84:85], v[94:95], -v[110:111]
	v_add_f64_e64 v[86:87], v[112:113], -v[102:103]
	v_add_f64_e32 v[80:81], v[94:95], v[110:111]
	v_add_f64_e32 v[82:83], v[112:113], v[102:103]
	;; [unrolled: 1-line block ×4, first 2 shown]
	v_add_f64_e64 v[100:101], v[118:119], -v[114:115]
	v_add_f64_e64 v[102:103], v[120:121], -v[116:117]
	;; [unrolled: 1-line block ×4, first 2 shown]
	v_add_f64_e32 v[92:93], v[122:123], v[130:131]
	v_add_f64_e32 v[94:95], v[124:125], v[136:137]
	v_add_f64_e64 v[4:5], v[126:127], -v[132:133]
	v_add_f64_e64 v[6:7], v[128:129], -v[134:135]
	v_add_f64_e32 v[96:97], v[126:127], v[132:133]
	v_add_f64_e32 v[98:99], v[128:129], v[134:135]
	v_and_b32_e32 v104, 0xff, v8
	v_mad_u32_u24 v105, 0x90, v8, v176
	ds_store_b128 v105, v[32:35]
	ds_store_b128 v105, v[48:51] offset:16
	v_mul_lo_u16 v104, 0xcd, v104
	v_mul_i32_i24_e32 v32, 10, v14
	ds_store_b128 v105, v[56:59] offset:32
	ds_store_b128 v105, v[64:67] offset:48
	v_lshrrev_b16 v185, 11, v104
	v_lshl_add_u32 v180, v32, 4, 0
	ds_store_b128 v105, v[68:71] offset:64
	ds_store_b128 v105, v[36:39] offset:80
	;; [unrolled: 1-line block ×6, first 2 shown]
	ds_store_b128 v180, v[40:43]
	ds_store_b128 v180, v[80:83] offset:16
	v_mul_lo_u16 v33, v185, 10
	ds_store_b128 v180, v[88:91] offset:32
	ds_store_b128 v180, v[92:95] offset:48
	;; [unrolled: 1-line block ×4, first 2 shown]
	v_sub_nc_u16 v32, v8, v33
	ds_store_b128 v180, v[84:87] offset:96
	ds_store_b128 v180, v[100:103] offset:112
	;; [unrolled: 1-line block ×4, first 2 shown]
	global_wb scope:SCOPE_SE
	s_wait_dscnt 0x0
	s_barrier_signal -1
	v_and_b32_e32 v184, 0xff, v32
	s_barrier_wait -1
	global_inv scope:SCOPE_SE
	v_and_b32_e32 v33, 0xffff, v14
	v_mad_i32_i24 v183, 0xffffff70, v14, v180
	v_mul_u32_u24_e32 v32, 9, v184
	s_delay_alu instid0(VALU_DEP_3) | instskip(NEXT) | instid1(VALU_DEP_2)
	v_mul_u32_u24_e32 v1, 0xcccd, v33
	v_lshlrev_b32_e32 v0, 4, v32
	s_delay_alu instid0(VALU_DEP_2)
	v_lshrrev_b32_e32 v186, 19, v1
	s_clause 0x4
	global_load_b128 v[4:7], v0, s[8:9] offset:16
	global_load_b128 v[32:35], v0, s[8:9] offset:32
	global_load_b128 v[36:39], v0, s[8:9] offset:48
	global_load_b128 v[40:43], v0, s[8:9] offset:80
	global_load_b128 v[44:47], v0, s[8:9] offset:112
	v_mul_lo_u16 v1, v186, 10
	s_delay_alu instid0(VALU_DEP_1) | instskip(NEXT) | instid1(VALU_DEP_1)
	v_sub_nc_u16 v1, v14, v1
	v_and_b32_e32 v187, 0xffff, v1
	s_delay_alu instid0(VALU_DEP_1) | instskip(NEXT) | instid1(VALU_DEP_1)
	v_mul_u32_u24_e32 v1, 9, v187
	v_lshlrev_b32_e32 v1, 4, v1
	s_clause 0xc
	global_load_b128 v[52:55], v1, s[8:9] offset:16
	global_load_b128 v[56:59], v1, s[8:9] offset:48
	global_load_b128 v[60:63], v1, s[8:9] offset:80
	global_load_b128 v[64:67], v1, s[8:9] offset:112
	global_load_b128 v[84:87], v0, s[8:9] offset:64
	global_load_b128 v[88:91], v0, s[8:9] offset:96
	global_load_b128 v[94:97], v0, s[8:9] offset:128
	global_load_b128 v[100:103], v0, s[8:9]
	global_load_b128 v[104:107], v1, s[8:9] offset:32
	global_load_b128 v[112:115], v1, s[8:9] offset:64
	;; [unrolled: 1-line block ×4, first 2 shown]
	global_load_b128 v[124:127], v1, s[8:9]
	ds_load_b128 v[48:51], v181
	ds_load_b128 v[74:77], v179
	;; [unrolled: 1-line block ×3, first 2 shown]
	ds_load_b128 v[128:131], v176 offset:30720
	ds_load_b128 v[132:135], v176 offset:40960
	;; [unrolled: 1-line block ×3, first 2 shown]
	ds_load_b128 v[0:3], v183
	ds_load_b128 v[140:143], v176 offset:23040
	ds_load_b128 v[144:147], v176 offset:33280
	ds_load_b128 v[148:151], v182
	ds_load_b128 v[152:155], v176 offset:38400
	ds_load_b128 v[156:159], v176 offset:43520
	;; [unrolled: 1-line block ×8, first 2 shown]
	s_wait_loadcnt_dscnt 0x1111
	v_mul_f64_e32 v[68:69], v[50:51], v[6:7]
	s_wait_loadcnt_dscnt 0x1010
	v_mul_f64_e32 v[82:83], v[76:77], v[34:35]
	v_mul_f64_e32 v[34:35], v[74:75], v[34:35]
	s_wait_loadcnt_dscnt 0xf0f
	v_mul_f64_e32 v[92:93], v[80:81], v[38:39]
	;; [unrolled: 3-line block ×3, first 2 shown]
	v_mul_f64_e32 v[46:47], v[132:133], v[46:47]
	v_mul_f64_e32 v[6:7], v[48:49], v[6:7]
	;; [unrolled: 1-line block ×4, first 2 shown]
	s_wait_loadcnt_dscnt 0xc0c
	v_mul_f64_e32 v[198:199], v[138:139], v[54:55]
	v_mul_f64_e32 v[54:55], v[136:137], v[54:55]
	s_wait_loadcnt_dscnt 0xb0a
	v_mul_f64_e32 v[200:201], v[142:143], v[58:59]
	v_mul_f64_e32 v[58:59], v[140:141], v[58:59]
	v_fma_f64 v[70:71], v[48:49], v[4:5], -v[68:69]
	s_wait_loadcnt_dscnt 0xa09
	v_mul_f64_e32 v[68:69], v[146:147], v[62:63]
	v_mul_f64_e32 v[62:63], v[144:145], v[62:63]
	v_fma_f64 v[110:111], v[76:77], v[32:33], v[34:35]
	v_fma_f64 v[76:77], v[78:79], v[36:37], -v[92:93]
	v_fma_f64 v[78:79], v[80:81], v[36:37], v[38:39]
	v_fma_f64 v[36:37], v[132:133], v[44:45], -v[196:197]
	v_fma_f64 v[38:39], v[134:135], v[44:45], v[46:47]
	ds_load_b128 v[132:135], v176 offset:48640
	v_fma_f64 v[72:73], v[50:51], v[4:5], v[6:7]
	ds_load_b128 v[4:7], v176
	v_fma_f64 v[108:109], v[74:75], v[32:33], -v[82:83]
	s_wait_loadcnt_dscnt 0x908
	v_mul_f64_e32 v[32:33], v[158:159], v[66:67]
	v_mul_f64_e32 v[34:35], v[156:157], v[66:67]
	v_fma_f64 v[48:49], v[128:129], v[40:41], -v[98:99]
	v_fma_f64 v[50:51], v[130:131], v[40:41], v[42:43]
	s_wait_loadcnt_dscnt 0x805
	v_mul_f64_e32 v[40:41], v[170:171], v[86:87]
	v_mul_f64_e32 v[42:43], v[168:169], v[86:87]
	s_wait_loadcnt_dscnt 0x704
	v_mul_f64_e32 v[86:87], v[174:175], v[90:91]
	s_wait_loadcnt_dscnt 0x603
	v_mul_f64_e32 v[98:99], v[190:191], v[96:97]
	v_mul_f64_e32 v[128:129], v[172:173], v[90:91]
	;; [unrolled: 1-line block ×3, first 2 shown]
	v_fma_f64 v[74:75], v[136:137], v[52:53], -v[198:199]
	v_fma_f64 v[80:81], v[138:139], v[52:53], v[54:55]
	s_wait_loadcnt 0x5
	v_mul_f64_e32 v[52:53], v[150:151], v[102:103]
	s_wait_loadcnt 0x4
	v_mul_f64_e32 v[54:55], v[166:167], v[106:107]
	v_mul_f64_e32 v[106:107], v[164:165], v[106:107]
	s_wait_loadcnt_dscnt 0x302
	v_mul_f64_e32 v[136:137], v[194:195], v[114:115]
	v_mul_f64_e32 v[114:115], v[192:193], v[114:115]
	;; [unrolled: 1-line block ×3, first 2 shown]
	v_fma_f64 v[66:67], v[140:141], v[56:57], -v[200:201]
	v_fma_f64 v[82:83], v[142:143], v[56:57], v[58:59]
	s_wait_loadcnt 0x0
	v_mul_f64_e32 v[138:139], v[162:163], v[126:127]
	v_mul_f64_e32 v[126:127], v[160:161], v[126:127]
	global_wb scope:SCOPE_SE
	s_wait_dscnt 0x0
	s_barrier_signal -1
	s_barrier_wait -1
	global_inv scope:SCOPE_SE
	v_fma_f64 v[44:45], v[144:145], v[60:61], -v[68:69]
	v_fma_f64 v[46:47], v[146:147], v[60:61], v[62:63]
	v_mul_f64_e32 v[62:63], v[154:155], v[118:119]
	v_mul_f64_e32 v[68:69], v[134:135], v[122:123]
	;; [unrolled: 1-line block ×4, first 2 shown]
	v_fma_f64 v[32:33], v[156:157], v[64:65], -v[32:33]
	v_fma_f64 v[34:35], v[158:159], v[64:65], v[34:35]
	v_fma_f64 v[90:91], v[168:169], v[84:85], -v[40:41]
	v_fma_f64 v[92:93], v[170:171], v[84:85], v[42:43]
	v_fma_f64 v[56:57], v[172:173], v[88:89], -v[86:87]
	v_fma_f64 v[40:41], v[188:189], v[94:95], -v[98:99]
	v_fma_f64 v[58:59], v[174:175], v[88:89], v[128:129]
	v_fma_f64 v[42:43], v[190:191], v[94:95], v[96:97]
	v_add_f64_e32 v[84:85], v[76:77], v[48:49]
	v_add_f64_e32 v[86:87], v[70:71], v[36:37]
	v_fma_f64 v[130:131], v[148:149], v[100:101], -v[52:53]
	v_fma_f64 v[98:99], v[164:165], v[104:105], -v[54:55]
	v_fma_f64 v[128:129], v[166:167], v[104:105], v[106:107]
	v_fma_f64 v[60:61], v[192:193], v[112:113], -v[136:137]
	v_fma_f64 v[64:65], v[194:195], v[112:113], v[114:115]
	v_add_f64_e32 v[88:89], v[78:79], v[50:51]
	v_add_f64_e32 v[94:95], v[72:73], v[38:39]
	v_add_f64_e64 v[148:149], v[76:77], -v[70:71]
	v_fma_f64 v[142:143], v[160:161], v[124:125], -v[138:139]
	v_fma_f64 v[140:141], v[162:163], v[124:125], v[126:127]
	v_add_f64_e64 v[124:125], v[72:73], -v[78:79]
	v_add_f64_e64 v[126:127], v[38:39], -v[50:51]
	;; [unrolled: 1-line block ×4, first 2 shown]
	v_add_f64_e32 v[160:161], v[4:5], v[70:71]
	v_add_f64_e32 v[96:97], v[66:67], v[44:45]
	;; [unrolled: 1-line block ×3, first 2 shown]
	v_fma_f64 v[52:53], v[152:153], v[116:117], -v[62:63]
	v_fma_f64 v[54:55], v[132:133], v[120:121], -v[68:69]
	v_fma_f64 v[62:63], v[154:155], v[116:117], v[118:119]
	v_fma_f64 v[68:69], v[134:135], v[120:121], v[122:123]
	v_fma_f64 v[132:133], v[150:151], v[100:101], v[102:103]
	v_add_f64_e32 v[116:117], v[82:83], v[46:47]
	v_add_f64_e64 v[120:121], v[70:71], -v[76:77]
	v_add_f64_e64 v[122:123], v[36:37], -v[48:49]
	;; [unrolled: 1-line block ×3, first 2 shown]
	v_add_f64_e32 v[100:101], v[74:75], v[32:33]
	v_add_f64_e32 v[118:119], v[80:81], v[34:35]
	v_add_f64_e64 v[152:153], v[78:79], -v[72:73]
	v_add_f64_e64 v[154:155], v[50:51], -v[38:39]
	;; [unrolled: 1-line block ×12, first 2 shown]
	v_add_f64_e32 v[194:195], v[108:109], v[40:41]
	v_add_f64_e32 v[202:203], v[110:111], v[42:43]
	v_add_f64_e64 v[188:189], v[98:99], -v[60:61]
	v_add_f64_e64 v[192:193], v[128:129], -v[64:65]
	v_add_f64_e32 v[198:199], v[90:91], v[56:57]
	v_add_f64_e32 v[200:201], v[92:93], v[58:59]
	v_fma_f64 v[106:107], v[84:85], -0.5, v[4:5]
	v_fma_f64 v[114:115], v[86:87], -0.5, v[4:5]
	;; [unrolled: 1-line block ×4, first 2 shown]
	v_add_f64_e32 v[138:139], v[0:1], v[74:75]
	v_add_f64_e32 v[204:205], v[2:3], v[80:81]
	v_add_f64_e64 v[210:211], v[82:83], -v[80:81]
	v_fma_f64 v[96:97], v[96:97], -0.5, v[0:1]
	v_add_f64_e32 v[166:167], v[166:167], v[78:79]
	v_add_f64_e64 v[78:79], v[78:79], -v[50:51]
	v_add_f64_e64 v[190:191], v[54:55], -v[52:53]
	;; [unrolled: 1-line block ×5, first 2 shown]
	v_fma_f64 v[94:95], v[116:117], -0.5, v[2:3]
	v_add_f64_e64 v[74:75], v[74:75], -v[32:33]
	v_add_f64_e64 v[208:209], v[44:45], -v[32:33]
	v_add_f64_e32 v[88:89], v[148:149], v[150:151]
	v_fma_f64 v[102:103], v[100:101], -0.5, v[0:1]
	v_fma_f64 v[100:101], v[118:119], -0.5, v[2:3]
	v_add_f64_e32 v[2:3], v[120:121], v[122:123]
	v_add_f64_e32 v[0:1], v[124:125], v[126:127]
	;; [unrolled: 1-line block ×3, first 2 shown]
	v_add_f64_e64 v[148:149], v[62:63], -v[68:69]
	v_add_f64_e32 v[150:151], v[130:131], v[108:109]
	v_add_f64_e32 v[116:117], v[134:135], v[136:137]
	v_add_f64_e64 v[136:137], v[60:61], -v[98:99]
	v_add_f64_e32 v[118:119], v[144:145], v[146:147]
	v_add_f64_e64 v[144:145], v[52:53], -v[54:55]
	v_add_f64_e64 v[146:147], v[64:65], -v[128:129]
	v_add_f64_e32 v[122:123], v[156:157], v[158:159]
	v_add_f64_e32 v[124:125], v[162:163], v[164:165]
	v_add_f64_e64 v[154:155], v[90:91], -v[56:57]
	v_add_f64_e32 v[5:6], v[168:169], v[170:171]
	v_add_f64_e32 v[152:153], v[132:133], v[110:111]
	;; [unrolled: 1-line block ×3, first 2 shown]
	v_add_f64_e64 v[158:159], v[92:93], -v[58:59]
	v_fma_f64 v[156:157], v[194:195], -0.5, v[130:131]
	v_add_f64_e32 v[164:165], v[98:99], v[54:55]
	v_add_f64_e32 v[168:169], v[60:61], v[52:53]
	v_fma_f64 v[170:171], v[202:203], -0.5, v[132:133]
	v_add_f64_e32 v[174:175], v[64:65], v[62:63]
	v_fma_f64 v[172:173], v[198:199], -0.5, v[130:131]
	v_add_f64_e64 v[194:195], v[108:109], -v[40:41]
	v_add_f64_e32 v[134:135], v[140:141], v[128:129]
	v_add_f64_e64 v[162:163], v[98:99], -v[54:55]
	v_add_f64_e32 v[138:139], v[138:139], v[66:67]
	;; [unrolled: 2-line block ×4, first 2 shown]
	v_add_f64_e32 v[192:193], v[128:129], v[68:69]
	v_fma_f64 v[190:191], v[200:201], -0.5, v[132:133]
	v_add_f64_e32 v[132:133], v[142:143], v[98:99]
	v_add_f64_e64 v[196:197], v[128:129], -v[68:69]
	v_add_f64_e32 v[50:51], v[166:167], v[50:51]
	v_add_f64_e64 v[212:213], v[46:47], -v[34:35]
	v_add_f64_e32 v[110:111], v[206:207], v[208:209]
	v_lshrrev_b16 v4, 2, v14
	v_add_nc_u32_e32 v7, 0xffffff9c, v8
	v_add_f64_e32 v[128:129], v[150:151], v[90:91]
	s_wait_alu 0xf1ff
	s_delay_alu instid0(VALU_DEP_2)
	v_cndmask_b32_e64 v7, v7, v8, s0
	v_add_f64_e32 v[130:131], v[136:137], v[144:145]
	v_add_f64_e64 v[136:137], v[64:65], -v[62:63]
	v_add_f64_e32 v[98:99], v[146:147], v[148:149]
	v_add_f64_e32 v[92:93], v[152:153], v[92:93]
	v_fma_f64 v[90:91], v[158:159], s[10:11], v[156:157]
	v_fma_f64 v[144:145], v[158:159], s[4:5], v[156:157]
	v_fma_f64 v[146:147], v[164:165], -0.5, v[142:143]
	v_fma_f64 v[164:165], v[168:169], -0.5, v[142:143]
	v_fma_f64 v[148:149], v[154:155], s[4:5], v[170:171]
	v_fma_f64 v[152:153], v[154:155], s[10:11], v[170:171]
	v_fma_f64 v[170:171], v[174:175], -0.5, v[140:141]
	v_add_f64_e64 v[156:157], v[60:61], -v[52:53]
	v_add_f64_e32 v[64:65], v[134:135], v[64:65]
	v_add_f64_e32 v[44:45], v[138:139], v[44:45]
	v_fma_f64 v[168:169], v[188:189], s[4:5], v[172:173]
	v_fma_f64 v[172:173], v[188:189], s[10:11], v[172:173]
	v_fma_f64 v[174:175], v[192:193], -0.5, v[140:141]
	v_fma_f64 v[192:193], v[194:195], s[10:11], v[190:191]
	v_fma_f64 v[190:191], v[194:195], s[4:5], v[190:191]
	v_add_f64_e32 v[60:61], v[132:133], v[60:61]
	v_add_f64_e32 v[108:109], v[210:211], v[212:213]
	;; [unrolled: 1-line block ×4, first 2 shown]
	v_fma_f64 v[92:93], v[78:79], s[10:11], v[114:115]
	v_fma_f64 v[114:115], v[78:79], s[4:5], v[114:115]
	;; [unrolled: 1-line block ×11, first 2 shown]
	v_add_f64_e64 v[90:91], v[72:73], -v[38:39]
	v_add_f64_e64 v[72:73], v[70:71], -v[36:37]
	;; [unrolled: 1-line block ×3, first 2 shown]
	v_fma_f64 v[152:153], v[158:159], s[12:13], v[168:169]
	v_fma_f64 v[144:145], v[158:159], s[14:15], v[172:173]
	;; [unrolled: 1-line block ×6, first 2 shown]
	v_add_f64_e32 v[164:165], v[160:161], v[76:77]
	v_add_f64_e64 v[76:77], v[76:77], -v[48:49]
	v_fma_f64 v[148:149], v[154:155], s[12:13], v[190:191]
	v_add_f64_e32 v[154:155], v[204:205], v[82:83]
	v_add_f64_e32 v[52:53], v[60:61], v[52:53]
	;; [unrolled: 1-line block ×6, first 2 shown]
	v_and_b32_e32 v192, 0xffff, v4
	v_mov_b32_e32 v4, 0
	v_add_f64_e32 v[42:43], v[58:59], v[42:43]
	v_fma_f64 v[142:143], v[122:123], s[16:17], v[142:143]
	v_fma_f64 v[122:123], v[122:123], s[16:17], v[140:141]
	v_fma_f64 v[160:161], v[196:197], s[12:13], v[188:189]
	v_fma_f64 v[82:83], v[196:197], s[14:15], v[198:199]
	v_fma_f64 v[150:151], v[124:125], s[16:17], v[150:151]
	v_fma_f64 v[124:125], v[124:125], s[16:17], v[146:147]
	v_fma_f64 v[190:191], v[136:137], s[12:13], v[194:195]
	v_fma_f64 v[188:189], v[156:157], s[14:15], v[200:201]
	v_fma_f64 v[156:157], v[156:157], s[12:13], v[170:171]
	v_fma_f64 v[132:133], v[90:91], s[4:5], v[106:107]
	v_fma_f64 v[134:135], v[72:73], s[10:11], v[104:105]
	v_fma_f64 v[106:107], v[90:91], s[10:11], v[106:107]
	v_fma_f64 v[152:153], v[116:117], s[16:17], v[152:153]
	v_fma_f64 v[104:105], v[72:73], s[4:5], v[104:105]
	v_fma_f64 v[172:173], v[162:163], s[14:15], v[172:173]
	v_fma_f64 v[162:163], v[162:163], s[12:13], v[174:175]
	v_fma_f64 v[136:137], v[136:137], s[14:15], v[168:169]
	v_fma_f64 v[158:159], v[118:119], s[16:17], v[158:159]
	v_add_f64_e32 v[48:49], v[164:165], v[48:49]
	v_fma_f64 v[128:129], v[76:77], s[4:5], v[112:113]
	v_fma_f64 v[112:113], v[76:77], s[10:11], v[112:113]
	v_fma_f64 v[164:165], v[80:81], s[4:5], v[96:97]
	v_fma_f64 v[116:117], v[116:117], s[16:17], v[144:145]
	v_fma_f64 v[118:119], v[118:119], s[16:17], v[148:149]
	v_fma_f64 v[140:141], v[74:75], s[10:11], v[94:95]
	v_fma_f64 v[146:147], v[70:71], s[10:11], v[102:103]
	v_fma_f64 v[144:145], v[66:67], s[4:5], v[100:101]
	v_fma_f64 v[102:103], v[70:71], s[4:5], v[102:103]
	v_fma_f64 v[100:101], v[66:67], s[10:11], v[100:101]
	v_fma_f64 v[96:97], v[80:81], s[10:11], v[96:97]
	v_fma_f64 v[94:95], v[74:75], s[4:5], v[94:95]
	v_fma_f64 v[62:63], v[90:91], s[14:15], v[114:115]
	v_add_f64_e32 v[46:47], v[154:155], v[46:47]
	v_add_f64_e32 v[52:53], v[52:53], v[54:55]
	;; [unrolled: 1-line block ×3, first 2 shown]
	v_mul_u32_u24_e32 v174, 0x147b, v192
	v_fma_f64 v[160:161], v[130:131], s[16:17], v[160:161]
	v_fma_f64 v[82:83], v[130:131], s[16:17], v[82:83]
	v_mul_f64_e32 v[130:131], s[16:17], v[124:125]
	v_fma_f64 v[166:167], v[120:121], s[16:17], v[190:191]
	v_fma_f64 v[148:149], v[126:127], s[16:17], v[188:189]
	;; [unrolled: 1-line block ×5, first 2 shown]
	v_mul_f64_e32 v[114:115], s[14:15], v[152:153]
	v_mul_f64_e32 v[106:107], s[4:5], v[150:151]
	v_fma_f64 v[168:169], v[98:99], s[16:17], v[172:173]
	v_fma_f64 v[98:99], v[98:99], s[16:17], v[162:163]
	;; [unrolled: 1-line block ×3, first 2 shown]
	v_add_f64_e32 v[36:37], v[48:49], v[36:37]
	v_fma_f64 v[48:49], v[90:91], s[12:13], v[92:93]
	v_fma_f64 v[90:91], v[76:77], s[14:15], v[134:135]
	v_mul_f64_e32 v[92:93], s[12:13], v[158:159]
	v_fma_f64 v[50:51], v[72:73], s[14:15], v[128:129]
	v_fma_f64 v[72:73], v[72:73], s[12:13], v[112:113]
	v_mul_f64_e32 v[112:113], s[10:11], v[142:143]
	;; [unrolled: 3-line block ×3, first 2 shown]
	v_mul_f64_e32 v[136:137], s[18:19], v[116:117]
	v_mul_f64_e32 v[138:139], s[18:19], v[118:119]
	v_fma_f64 v[132:133], v[66:67], s[14:15], v[140:141]
	v_fma_f64 v[134:135], v[80:81], s[12:13], v[146:147]
	;; [unrolled: 1-line block ×7, first 2 shown]
	v_add_f64_e32 v[46:47], v[46:47], v[34:35]
	v_add_f64_e32 v[34:35], v[38:39], v[42:43]
	v_add_f64_e64 v[38:39], v[38:39], -v[42:43]
	v_mul_f64_e32 v[100:101], s[10:11], v[160:161]
	v_mul_f64_e32 v[94:95], s[16:17], v[82:83]
	v_mul_f64_e32 v[144:145], s[14:15], v[166:167]
	v_mul_f64_e32 v[102:103], s[12:13], v[148:149]
	v_mul_f64_e32 v[156:157], s[18:19], v[126:127]
	v_fma_f64 v[56:57], v[2:3], s[16:17], v[64:65]
	v_fma_f64 v[78:79], v[2:3], s[16:17], v[78:79]
	;; [unrolled: 1-line block ×3, first 2 shown]
	v_mul_i32_i24_e32 v3, 3, v7
	v_mul_f64_e32 v[96:97], s[4:5], v[168:169]
	v_mul_f64_e32 v[146:147], s[16:17], v[98:99]
	;; [unrolled: 1-line block ×3, first 2 shown]
	v_and_b32_e32 v2, 0xffff, v185
	v_add_f64_e32 v[32:33], v[36:37], v[40:41]
	v_fma_f64 v[60:61], v[88:89], s[16:17], v[48:49]
	v_fma_f64 v[88:89], v[88:89], s[16:17], v[62:63]
	;; [unrolled: 1-line block ×10, first 2 shown]
	v_fma_f64 v[76:77], v[124:125], s[4:5], -v[128:129]
	v_fma_f64 v[104:105], v[122:123], s[10:11], -v[130:131]
	;; [unrolled: 1-line block ×4, first 2 shown]
	v_fma_f64 v[106:107], v[84:85], s[16:17], v[132:133]
	v_fma_f64 v[112:113], v[110:111], s[16:17], v[134:135]
	;; [unrolled: 1-line block ×8, first 2 shown]
	v_fma_f64 v[132:133], v[98:99], s[4:5], -v[94:95]
	v_add_f64_e64 v[36:37], v[36:37], -v[40:41]
	v_add_f64_e32 v[40:41], v[44:45], v[52:53]
	v_fma_f64 v[122:123], v[148:149], s[18:19], v[144:145]
	v_fma_f64 v[102:103], v[166:167], s[18:19], v[102:103]
	v_fma_f64 v[120:121], v[120:121], s[14:15], -v[156:157]
	v_add_f64_e32 v[42:43], v[46:47], v[54:55]
	v_add_f64_e64 v[44:45], v[44:45], -v[52:53]
	v_add_f64_e64 v[46:47], v[46:47], -v[54:55]
	v_lshrrev_b32_e32 v5, 17, v174
	v_mul_u32_u24_e32 v2, 0x640, v2
	v_fma_f64 v[96:97], v[160:161], s[16:17], v[96:97]
	v_fma_f64 v[134:135], v[82:83], s[10:11], -v[146:147]
	v_fma_f64 v[126:127], v[126:127], s[12:13], -v[154:155]
	v_mul_lo_u16 v6, 0x64, v5
	v_lshlrev_b32_e32 v7, 4, v7
	v_add_f64_e32 v[50:51], v[58:59], v[64:65]
	v_add_f64_e32 v[48:49], v[56:57], v[62:63]
	v_add_f64_e64 v[52:53], v[56:57], -v[62:63]
	v_add_f64_e64 v[54:55], v[58:59], -v[64:65]
	v_add_f64_e32 v[56:57], v[60:61], v[86:87]
	v_add_f64_e32 v[58:59], v[68:69], v[90:91]
	v_add_f64_e64 v[60:61], v[60:61], -v[86:87]
	v_add_f64_e64 v[62:63], v[68:69], -v[90:91]
	v_add_f64_e32 v[64:65], v[88:89], v[76:77]
	v_add_f64_e32 v[66:67], v[72:73], v[104:105]
	v_add_f64_e64 v[70:71], v[72:73], -v[104:105]
	v_add_f64_e32 v[72:73], v[78:79], v[114:115]
	v_add_f64_e32 v[74:75], v[0:1], v[116:117]
	v_add_f64_e64 v[68:69], v[88:89], -v[76:77]
	v_add_f64_e64 v[76:77], v[78:79], -v[114:115]
	;; [unrolled: 1-line block ×3, first 2 shown]
	v_lshlrev_b64_e32 v[0:1], 4, v[3:4]
	v_lshlrev_b32_e32 v115, 4, v184
	v_mul_u32_u24_e32 v3, 0x640, v186
	v_add_f64_e32 v[90:91], v[118:119], v[128:129]
	v_add_f64_e64 v[94:95], v[118:119], -v[128:129]
	v_add_f64_e64 v[104:105], v[110:111], -v[132:133]
	v_lshlrev_b32_e32 v116, 4, v187
	v_add_f64_e32 v[82:83], v[106:107], v[122:123]
	v_add_f64_e32 v[80:81], v[92:93], v[102:103]
	v_add_f64_e64 v[84:85], v[92:93], -v[102:103]
	v_add_f64_e32 v[102:103], v[130:131], v[120:121]
	v_add_f64_e64 v[86:87], v[106:107], -v[122:123]
	v_sub_nc_u16 v6, v14, v6
	v_lshrrev_b16 v114, 2, v30
	v_add_f64_e32 v[88:89], v[112:113], v[96:97]
	v_add_f64_e64 v[92:93], v[112:113], -v[96:97]
	v_add_f64_e32 v[96:97], v[110:111], v[132:133]
	v_add_f64_e32 v[98:99], v[108:109], v[134:135]
	;; [unrolled: 1-line block ×3, first 2 shown]
	v_add_f64_e64 v[106:107], v[108:109], -v[134:135]
	v_add_f64_e64 v[108:109], v[124:125], -v[126:127]
	;; [unrolled: 1-line block ×3, first 2 shown]
	v_add_co_u32 v112, s0, s8, v0
	s_wait_alu 0xf1ff
	v_add_co_ci_u32_e64 v113, s0, s9, v1, s0
	v_add3_u32 v0, 0, v2, v115
	v_add3_u32 v1, 0, v3, v116
	v_and_b32_e32 v6, 0xffff, v6
	ds_store_b128 v0, v[32:35]
	ds_store_b128 v0, v[48:51] offset:160
	ds_store_b128 v0, v[56:59] offset:320
	ds_store_b128 v0, v[64:67] offset:480
	ds_store_b128 v0, v[36:39] offset:800
	ds_store_b128 v0, v[72:75] offset:640
	ds_store_b128 v0, v[52:55] offset:960
	ds_store_b128 v0, v[60:63] offset:1120
	ds_store_b128 v0, v[68:71] offset:1280
	ds_store_b128 v0, v[76:79] offset:1440
	ds_store_b128 v1, v[40:43]
	ds_store_b128 v1, v[80:83] offset:160
	ds_store_b128 v1, v[88:91] offset:320
	ds_store_b128 v1, v[96:99] offset:480
	ds_store_b128 v1, v[100:103] offset:640
	ds_store_b128 v1, v[44:47] offset:800
	ds_store_b128 v1, v[84:87] offset:960
	ds_store_b128 v1, v[92:95] offset:1120
	ds_store_b128 v1, v[104:107] offset:1280
	ds_store_b128 v1, v[108:111] offset:1440
	global_wb scope:SCOPE_SE
	s_wait_dscnt 0x0
	s_barrier_signal -1
	s_barrier_wait -1
	global_inv scope:SCOPE_SE
	global_load_b128 v[0:3], v[112:113], off offset:1440
	v_lshrrev_b16 v32, 2, v28
	v_and_b32_e32 v33, 0xffff, v114
	v_mul_u32_u24_e32 v34, 3, v6
	s_clause 0x1
	global_load_b128 v[38:41], v[112:113], off offset:1456
	global_load_b128 v[42:45], v[112:113], off offset:1472
	v_and_b32_e32 v35, 0xffff, v32
	v_mul_u32_u24_e32 v32, 0x147b, v33
	v_lshlrev_b32_e32 v34, 4, v34
	v_lshrrev_b16 v33, 2, v26
	v_lshl_add_u32 v105, v24, 4, 0
	v_mul_u32_u24_e32 v35, 0x147b, v35
	v_lshrrev_b32_e32 v32, 17, v32
	s_clause 0x1
	global_load_b128 v[46:49], v34, s[8:9] offset:1440
	global_load_b128 v[50:53], v34, s[8:9] offset:1456
	v_and_b32_e32 v37, 0xffff, v33
	global_load_b128 v[54:57], v34, s[8:9] offset:1472
	v_mul_lo_u16 v36, 0x64, v32
	v_lshrrev_b32_e32 v33, 17, v35
	v_cmp_lt_u32_e64 s0, 0x63, v8
	v_lshlrev_b32_e32 v6, 4, v6
	v_mul_u32_u24_e32 v104, 3, v8
	v_sub_nc_u16 v35, v30, v36
	v_mul_u32_u24_e32 v36, 0x147b, v37
	v_mul_lo_u16 v37, 0x64, v33
	v_lshlrev_b64_e32 v[24:25], 4, v[24:25]
	s_delay_alu instid0(VALU_DEP_4) | instskip(NEXT) | instid1(VALU_DEP_4)
	v_and_b32_e32 v34, 0xffff, v35
	v_lshrrev_b32_e32 v35, 17, v36
	s_delay_alu instid0(VALU_DEP_4) | instskip(NEXT) | instid1(VALU_DEP_3)
	v_sub_nc_u16 v36, v28, v37
	v_mul_u32_u24_e32 v37, 3, v34
	s_delay_alu instid0(VALU_DEP_3) | instskip(NEXT) | instid1(VALU_DEP_3)
	v_mul_lo_u16 v58, 0x64, v35
	v_and_b32_e32 v36, 0xffff, v36
	s_delay_alu instid0(VALU_DEP_3) | instskip(NEXT) | instid1(VALU_DEP_3)
	v_lshlrev_b32_e32 v66, 4, v37
	v_sub_nc_u16 v37, v26, v58
	s_delay_alu instid0(VALU_DEP_3)
	v_mul_u32_u24_e32 v67, 3, v36
	v_lshlrev_b64_e32 v[26:27], 4, v[26:27]
	s_clause 0x1
	global_load_b128 v[58:61], v66, s[8:9] offset:1440
	global_load_b128 v[62:65], v66, s[8:9] offset:1456
	v_and_b32_e32 v37, 0xffff, v37
	v_lshlrev_b32_e32 v78, 4, v67
	s_clause 0x2
	global_load_b128 v[66:69], v66, s[8:9] offset:1472
	global_load_b128 v[70:73], v78, s[8:9] offset:1440
	;; [unrolled: 1-line block ×3, first 2 shown]
	v_mul_u32_u24_e32 v79, 3, v37
	s_delay_alu instid0(VALU_DEP_1)
	v_lshlrev_b32_e32 v90, 4, v79
	s_clause 0x3
	global_load_b128 v[78:81], v78, s[8:9] offset:1472
	global_load_b128 v[82:85], v90, s[8:9] offset:1440
	;; [unrolled: 1-line block ×4, first 2 shown]
	ds_load_b128 v[94:97], v105
	ds_load_b128 v[98:101], v176 offset:25600
	ds_load_b128 v[106:109], v176 offset:38400
	;; [unrolled: 1-line block ×3, first 2 shown]
	ds_load_b128 v[114:117], v181
	ds_load_b128 v[118:121], v176 offset:28160
	ds_load_b128 v[130:133], v176 offset:30720
	;; [unrolled: 1-line block ×10, first 2 shown]
	s_wait_loadcnt_dscnt 0xe0e
	v_mul_f64_e32 v[102:103], v[96:97], v[2:3]
	v_mul_f64_e32 v[2:3], v[94:95], v[2:3]
	s_wait_loadcnt_dscnt 0xd0d
	v_mul_f64_e32 v[162:163], v[100:101], v[40:41]
	v_mul_f64_e32 v[40:41], v[98:99], v[40:41]
	;; [unrolled: 3-line block ×6, first 2 shown]
	v_fma_f64 v[102:103], v[94:95], v[0:1], -v[102:103]
	v_fma_f64 v[172:173], v[96:97], v[0:1], v[2:3]
	ds_load_b128 v[0:3], v176 offset:48640
	ds_load_b128 v[94:97], v176
	ds_load_b128 v[158:161], v182
	v_fma_f64 v[98:99], v[98:99], v[38:39], -v[162:163]
	v_fma_f64 v[100:101], v[100:101], v[38:39], v[40:41]
	s_wait_loadcnt_dscnt 0x809
	v_mul_f64_e32 v[38:39], v[128:129], v[60:61]
	v_mul_f64_e32 v[40:41], v[126:127], v[60:61]
	s_wait_loadcnt 0x7
	v_mul_f64_e32 v[60:61], v[132:133], v[64:65]
	v_mul_f64_e32 v[64:65], v[130:131], v[64:65]
	v_fma_f64 v[162:163], v[106:107], v[42:43], -v[164:165]
	v_fma_f64 v[42:43], v[108:109], v[42:43], v[44:45]
	s_wait_loadcnt_dscnt 0x608
	v_mul_f64_e32 v[44:45], v[136:137], v[68:69]
	v_mul_f64_e32 v[68:69], v[134:135], v[68:69]
	s_wait_loadcnt_dscnt 0x507
	v_mul_f64_e32 v[106:107], v[140:141], v[72:73]
	v_mul_f64_e32 v[72:73], v[138:139], v[72:73]
	v_fma_f64 v[108:109], v[110:111], v[46:47], -v[166:167]
	v_fma_f64 v[46:47], v[112:113], v[46:47], v[48:49]
	s_wait_loadcnt_dscnt 0x404
	v_mul_f64_e32 v[48:49], v[152:153], v[76:77]
	v_mul_f64_e32 v[76:77], v[150:151], v[76:77]
	s_wait_loadcnt 0x3
	v_mul_f64_e32 v[110:111], v[144:145], v[80:81]
	v_mul_f64_e32 v[80:81], v[142:143], v[80:81]
	v_fma_f64 v[112:113], v[118:119], v[50:51], -v[168:169]
	v_fma_f64 v[50:51], v[120:121], v[50:51], v[52:53]
	s_wait_loadcnt 0x2
	v_mul_f64_e32 v[52:53], v[148:149], v[84:85]
	v_mul_f64_e32 v[84:85], v[146:147], v[84:85]
	s_wait_loadcnt_dscnt 0x103
	v_mul_f64_e32 v[118:119], v[156:157], v[88:89]
	v_mul_f64_e32 v[88:89], v[154:155], v[88:89]
	v_fma_f64 v[120:121], v[122:123], v[54:55], -v[170:171]
	v_fma_f64 v[54:55], v[124:125], v[54:55], v[56:57]
	s_wait_loadcnt_dscnt 0x2
	v_mul_f64_e32 v[56:57], v[2:3], v[92:93]
	v_mul_f64_e32 v[92:93], v[0:1], v[92:93]
	v_fma_f64 v[122:123], v[126:127], v[58:59], -v[38:39]
	v_fma_f64 v[58:59], v[128:129], v[58:59], v[40:41]
	v_fma_f64 v[60:61], v[130:131], v[62:63], -v[60:61]
	v_fma_f64 v[62:63], v[132:133], v[62:63], v[64:65]
	s_wait_alu 0xf1ff
	v_cndmask_b32_e64 v132, 0, 0x1900, s0
	v_add_f64_e64 v[42:43], v[172:173], -v[42:43]
	v_fma_f64 v[44:45], v[134:135], v[66:67], -v[44:45]
	v_fma_f64 v[64:65], v[136:137], v[66:67], v[68:69]
	v_fma_f64 v[66:67], v[138:139], v[70:71], -v[106:107]
	v_fma_f64 v[68:69], v[140:141], v[70:71], v[72:73]
	v_lshl_add_u32 v106, v28, 4, 0
	v_lshlrev_b64_e32 v[28:29], 4, v[28:29]
	v_fma_f64 v[48:49], v[150:151], v[74:75], -v[48:49]
	v_fma_f64 v[70:71], v[152:153], v[74:75], v[76:77]
	v_fma_f64 v[72:73], v[142:143], v[78:79], -v[110:111]
	v_fma_f64 v[74:75], v[144:145], v[78:79], v[80:81]
	ds_load_b128 v[38:41], v106
	v_fma_f64 v[52:53], v[146:147], v[82:83], -v[52:53]
	v_fma_f64 v[76:77], v[148:149], v[82:83], v[84:85]
	v_fma_f64 v[78:79], v[154:155], v[86:87], -v[118:119]
	v_fma_f64 v[80:81], v[156:157], v[86:87], v[88:89]
	s_wait_dscnt 0x2
	v_add_f64_e64 v[84:85], v[94:95], -v[98:99]
	v_add_f64_e64 v[86:87], v[96:97], -v[100:101]
	v_fma_f64 v[56:57], v[0:1], v[90:91], -v[56:57]
	v_fma_f64 v[82:83], v[2:3], v[90:91], v[92:93]
	ds_load_b128 v[0:3], v183
	v_add_f64_e64 v[88:89], v[102:103], -v[162:163]
	v_add_f64_e64 v[92:93], v[108:109], -v[120:121]
	global_wb scope:SCOPE_SE
	s_wait_dscnt 0x0
	s_barrier_signal -1
	s_barrier_wait -1
	global_inv scope:SCOPE_SE
	v_add_f64_e64 v[100:101], v[158:159], -v[60:61]
	v_add_f64_e64 v[110:111], v[160:161], -v[62:63]
	;; [unrolled: 1-line block ×11, first 2 shown]
	v_fma_f64 v[48:49], v[172:173], 2.0, -v[42:43]
	v_add_f64_e64 v[120:121], v[114:115], -v[78:79]
	v_add_f64_e64 v[124:125], v[116:117], -v[80:81]
	v_fma_f64 v[94:95], v[94:95], 2.0, -v[84:85]
	v_fma_f64 v[96:97], v[96:97], 2.0, -v[86:87]
	v_add_f64_e64 v[72:73], v[52:53], -v[56:57]
	v_add_f64_e64 v[74:75], v[76:77], -v[82:83]
	v_fma_f64 v[44:45], v[102:103], 2.0, -v[88:89]
	v_fma_f64 v[56:57], v[108:109], 2.0, -v[92:93]
	;; [unrolled: 1-line block ×13, first 2 shown]
	v_add_f64_e64 v[38:39], v[84:85], -v[42:43]
	v_add_f64_e32 v[40:41], v[86:87], v[88:89]
	v_add_f64_e64 v[42:43], v[90:91], -v[50:51]
	v_add_f64_e64 v[54:55], v[100:101], -v[54:55]
	v_fma_f64 v[128:129], v[114:115], 2.0, -v[120:121]
	v_fma_f64 v[130:131], v[116:117], 2.0, -v[124:125]
	v_add_f64_e32 v[64:65], v[118:119], v[64:65]
	v_add_f64_e64 v[48:49], v[96:97], -v[48:49]
	v_fma_f64 v[82:83], v[52:53], 2.0, -v[72:73]
	v_fma_f64 v[76:77], v[76:77], 2.0, -v[74:75]
	v_add_f64_e32 v[72:73], v[124:125], v[72:73]
	v_add_f64_e64 v[46:47], v[94:95], -v[44:45]
	v_add_f64_e32 v[44:45], v[98:99], v[92:93]
	v_add_f64_e64 v[58:59], v[102:103], -v[78:79]
	v_add_f64_e64 v[50:51], v[0:1], -v[56:57]
	v_add_f64_e32 v[56:57], v[110:111], v[62:63]
	v_add_f64_e64 v[52:53], v[2:3], -v[60:61]
	v_add_f64_e64 v[60:61], v[107:108], -v[80:81]
	;; [unrolled: 1-line block ×6, first 2 shown]
	v_fma_f64 v[78:79], v[84:85], 2.0, -v[38:39]
	v_fma_f64 v[80:81], v[86:87], 2.0, -v[40:41]
	;; [unrolled: 1-line block ×3, first 2 shown]
	v_add_f64_e64 v[74:75], v[128:129], -v[82:83]
	v_add_f64_e64 v[76:77], v[130:131], -v[76:77]
	v_fma_f64 v[82:83], v[90:91], 2.0, -v[42:43]
	v_fma_f64 v[86:87], v[94:95], 2.0, -v[46:47]
	;; [unrolled: 1-line block ×5, first 2 shown]
	v_lshlrev_b32_e32 v102, 4, v104
	v_fma_f64 v[90:91], v[0:1], 2.0, -v[50:51]
	v_fma_f64 v[96:97], v[110:111], 2.0, -v[56:57]
	;; [unrolled: 1-line block ×10, first 2 shown]
	v_mul_u32_u24_e32 v1, 0x1900, v5
	v_add3_u32 v0, 0, v132, v7
	v_mul_u32_u24_e32 v2, 0x1900, v32
	v_mul_u32_u24_e32 v5, 0x1900, v33
	;; [unrolled: 1-line block ×3, first 2 shown]
	v_lshlrev_b32_e32 v32, 4, v34
	v_fma_f64 v[119:120], v[128:129], 2.0, -v[74:75]
	v_fma_f64 v[121:122], v[130:131], 2.0, -v[76:77]
	v_lshlrev_b32_e32 v33, 4, v36
	v_lshlrev_b32_e32 v34, 4, v37
	v_mul_i32_i24_e32 v3, 3, v14
	v_add3_u32 v1, 0, v1, v6
	v_add3_u32 v2, 0, v2, v32
	;; [unrolled: 1-line block ×4, first 2 shown]
	ds_store_b128 v0, v[38:41] offset:4800
	ds_store_b128 v0, v[46:49] offset:3200
	;; [unrolled: 1-line block ×3, first 2 shown]
	ds_store_b128 v0, v[86:89]
	ds_store_b128 v1, v[90:93]
	ds_store_b128 v1, v[82:85] offset:1600
	ds_store_b128 v1, v[50:53] offset:3200
	ds_store_b128 v1, v[42:45] offset:4800
	ds_store_b128 v2, v[98:101]
	ds_store_b128 v2, v[94:97] offset:1600
	ds_store_b128 v2, v[58:61] offset:3200
	ds_store_b128 v2, v[54:57] offset:4800
	;; [unrolled: 4-line block ×4, first 2 shown]
	v_lshlrev_b64_e32 v[0:1], 4, v[3:4]
	global_wb scope:SCOPE_SE
	s_wait_dscnt 0x0
	s_barrier_signal -1
	s_barrier_wait -1
	global_inv scope:SCOPE_SE
	s_clause 0x1
	global_load_b128 v[32:35], v102, s[8:9] offset:6240
	global_load_b128 v[36:39], v102, s[8:9] offset:6256
	v_add_co_u32 v0, s0, s8, v0
	s_wait_alu 0xf1ff
	v_add_co_ci_u32_e64 v1, s0, s9, v1, s0
	global_load_b128 v[40:43], v102, s[8:9] offset:6272
	v_add_nc_u32_e32 v2, 0xffffffb0, v8
	v_cmp_gt_u32_e64 s0, 0x50, v8
	s_clause 0x1
	global_load_b128 v[44:47], v[0:1], off offset:6240
	global_load_b128 v[48:51], v[0:1], off offset:6256
	s_wait_alu 0xf1ff
	v_cndmask_b32_e64 v107, v2, v30, s0
	v_lshlrev_b64_e32 v[30:31], 4, v[30:31]
	s_delay_alu instid0(VALU_DEP_2) | instskip(NEXT) | instid1(VALU_DEP_1)
	v_mul_i32_i24_e32 v3, 3, v107
	v_lshlrev_b64_e32 v[2:3], 4, v[3:4]
	s_delay_alu instid0(VALU_DEP_1) | instskip(SKIP_1) | instid1(VALU_DEP_2)
	v_add_co_u32 v56, s0, s8, v2
	s_wait_alu 0xf1ff
	v_add_co_ci_u32_e64 v57, s0, s9, v3, s0
	s_clause 0x9
	global_load_b128 v[0:3], v[0:1], off offset:6272
	global_load_b128 v[4:7], v[56:57], off offset:6240
	;; [unrolled: 1-line block ×4, first 2 shown]
	global_load_b128 v[60:63], v102, s[8:9] offset:10080
	global_load_b128 v[64:67], v102, s[8:9] offset:10096
	;; [unrolled: 1-line block ×6, first 2 shown]
	ds_load_b128 v[84:87], v105
	ds_load_b128 v[88:91], v176 offset:25600
	ds_load_b128 v[92:95], v176 offset:38400
	;; [unrolled: 1-line block ×3, first 2 shown]
	ds_load_b128 v[101:104], v181
	ds_load_b128 v[108:111], v176 offset:28160
	ds_load_b128 v[120:123], v176 offset:30720
	;; [unrolled: 1-line block ×11, first 2 shown]
	ds_load_b128 v[152:155], v176
	ds_load_b128 v[156:159], v182
	v_cmp_lt_u32_e64 s0, 0x4f, v8
	s_wait_loadcnt_dscnt 0xe11
	v_mul_f64_e32 v[160:161], v[86:87], v[34:35]
	v_mul_f64_e32 v[34:35], v[84:85], v[34:35]
	s_wait_loadcnt_dscnt 0xd10
	v_mul_f64_e32 v[162:163], v[90:91], v[38:39]
	v_mul_f64_e32 v[38:39], v[88:89], v[38:39]
	;; [unrolled: 3-line block ×6, first 2 shown]
	v_fma_f64 v[160:161], v[84:85], v[32:33], -v[160:161]
	v_fma_f64 v[172:173], v[86:87], v[32:33], v[34:35]
	s_wait_loadcnt_dscnt 0x809
	v_mul_f64_e32 v[32:33], v[118:119], v[6:7]
	v_mul_f64_e32 v[6:7], v[116:117], v[6:7]
	s_wait_loadcnt 0x7
	v_mul_f64_e32 v[34:35], v[122:123], v[54:55]
	v_mul_f64_e32 v[54:55], v[120:121], v[54:55]
	v_fma_f64 v[84:85], v[88:89], v[36:37], -v[162:163]
	v_fma_f64 v[36:37], v[90:91], v[36:37], v[38:39]
	s_wait_loadcnt_dscnt 0x608
	v_mul_f64_e32 v[38:39], v[126:127], v[58:59]
	v_mul_f64_e32 v[58:59], v[124:125], v[58:59]
	s_wait_loadcnt_dscnt 0x507
	v_mul_f64_e32 v[86:87], v[130:131], v[62:63]
	v_mul_f64_e32 v[62:63], v[128:129], v[62:63]
	v_fma_f64 v[88:89], v[92:93], v[40:41], -v[164:165]
	v_fma_f64 v[40:41], v[94:95], v[40:41], v[42:43]
	s_wait_loadcnt_dscnt 0x404
	v_mul_f64_e32 v[42:43], v[142:143], v[66:67]
	v_mul_f64_e32 v[66:67], v[140:141], v[66:67]
	s_wait_loadcnt 0x3
	v_mul_f64_e32 v[90:91], v[134:135], v[70:71]
	v_mul_f64_e32 v[70:71], v[132:133], v[70:71]
	v_fma_f64 v[92:93], v[96:97], v[44:45], -v[166:167]
	v_fma_f64 v[94:95], v[98:99], v[44:45], v[46:47]
	s_wait_loadcnt 0x2
	v_mul_f64_e32 v[44:45], v[138:139], v[74:75]
	v_mul_f64_e32 v[46:47], v[136:137], v[74:75]
	s_wait_loadcnt_dscnt 0x103
	v_mul_f64_e32 v[74:75], v[146:147], v[78:79]
	v_mul_f64_e32 v[78:79], v[144:145], v[78:79]
	v_fma_f64 v[96:97], v[108:109], v[48:49], -v[168:169]
	v_fma_f64 v[48:49], v[110:111], v[48:49], v[50:51]
	s_wait_loadcnt_dscnt 0x2
	v_mul_f64_e32 v[50:51], v[150:151], v[82:83]
	v_mul_f64_e32 v[82:83], v[148:149], v[82:83]
	v_fma_f64 v[98:99], v[112:113], v[0:1], -v[170:171]
	v_fma_f64 v[108:109], v[114:115], v[0:1], v[2:3]
	v_fma_f64 v[110:111], v[116:117], v[4:5], -v[32:33]
	v_fma_f64 v[112:113], v[118:119], v[4:5], v[6:7]
	;; [unrolled: 2-line block ×3, first 2 shown]
	s_wait_dscnt 0x1
	v_add_f64_e64 v[0:1], v[152:153], -v[84:85]
	v_add_f64_e64 v[2:3], v[154:155], -v[36:37]
	v_fma_f64 v[54:55], v[124:125], v[56:57], -v[38:39]
	v_fma_f64 v[56:57], v[126:127], v[56:57], v[58:59]
	v_fma_f64 v[116:117], v[128:129], v[60:61], -v[86:87]
	v_fma_f64 v[118:119], v[130:131], v[60:61], v[62:63]
	v_add_f64_e64 v[4:5], v[160:161], -v[88:89]
	v_add_f64_e64 v[6:7], v[172:173], -v[40:41]
	v_fma_f64 v[86:87], v[140:141], v[64:65], -v[42:43]
	v_fma_f64 v[63:64], v[142:143], v[64:65], v[66:67]
	v_fma_f64 v[65:66], v[132:133], v[68:69], -v[90:91]
	v_fma_f64 v[90:91], v[134:135], v[68:69], v[70:71]
	ds_load_b128 v[59:62], v183
	ds_load_b128 v[67:70], v106
	global_wb scope:SCOPE_SE
	s_wait_dscnt 0x0
	v_fma_f64 v[120:121], v[136:137], v[72:73], -v[44:45]
	v_fma_f64 v[122:123], v[138:139], v[72:73], v[46:47]
	v_fma_f64 v[71:72], v[144:145], v[76:77], -v[74:75]
	v_fma_f64 v[73:74], v[146:147], v[76:77], v[78:79]
	s_barrier_signal -1
	s_barrier_wait -1
	v_fma_f64 v[124:125], v[148:149], v[80:81], -v[50:51]
	v_fma_f64 v[126:127], v[150:151], v[80:81], v[82:83]
	v_add_f64_e64 v[32:33], v[92:93], -v[98:99]
	v_add_f64_e64 v[34:35], v[94:95], -v[108:109]
	global_inv scope:SCOPE_SE
	v_add_f64_e64 v[37:38], v[59:60], -v[96:97]
	v_add_f64_e64 v[39:40], v[61:62], -v[48:49]
	;; [unrolled: 1-line block ×4, first 2 shown]
	v_lshlrev_b64_e32 v[114:115], 4, v[14:15]
	v_lshlrev_b32_e32 v15, 4, v107
	v_add_f64_e64 v[53:54], v[110:111], -v[54:55]
	v_add_f64_e64 v[75:76], v[112:113], -v[56:57]
	v_fma_f64 v[55:56], v[152:153], 2.0, -v[0:1]
	v_fma_f64 v[57:58], v[154:155], 2.0, -v[2:3]
	v_add_f64_e64 v[47:48], v[67:68], -v[86:87]
	v_add_f64_e64 v[45:46], v[69:70], -v[63:64]
	;; [unrolled: 1-line block ×4, first 2 shown]
	v_fma_f64 v[85:86], v[160:161], 2.0, -v[4:5]
	v_fma_f64 v[87:88], v[172:173], 2.0, -v[6:7]
	v_add_f64_e64 v[49:50], v[101:102], -v[71:72]
	v_add_f64_e64 v[51:52], v[103:104], -v[73:74]
	;; [unrolled: 1-line block ×4, first 2 shown]
	v_fma_f64 v[89:90], v[92:93], 2.0, -v[32:33]
	v_fma_f64 v[91:92], v[94:95], 2.0, -v[34:35]
	;; [unrolled: 1-line block ×8, first 2 shown]
	v_add_f64_e64 v[108:109], v[43:44], -v[75:76]
	v_add_f64_e32 v[110:111], v[41:42], v[53:54]
	v_lshlrev_b64_e32 v[112:113], 4, v[8:9]
	s_wait_alu 0xf1ff
	v_cndmask_b32_e64 v9, 0, 0x6400, s0
	v_fma_f64 v[67:68], v[67:68], 2.0, -v[47:48]
	v_fma_f64 v[69:70], v[69:70], 2.0, -v[45:46]
	;; [unrolled: 1-line block ×4, first 2 shown]
	v_lshlrev_b64_e32 v[116:117], 4, v[22:23]
	v_add_f64_e64 v[85:86], v[55:56], -v[85:86]
	v_add_f64_e64 v[87:88], v[57:58], -v[87:88]
	;; [unrolled: 1-line block ×3, first 2 shown]
	v_fma_f64 v[71:72], v[101:102], 2.0, -v[49:50]
	v_fma_f64 v[73:74], v[103:104], 2.0, -v[51:52]
	v_add_f64_e32 v[77:78], v[45:46], v[77:78]
	v_add_co_u32 v53, s0, s8, v112
	v_fma_f64 v[101:102], v[120:121], 2.0, -v[81:82]
	v_fma_f64 v[103:104], v[122:123], 2.0, -v[83:84]
	v_lshlrev_b64_e32 v[120:121], 4, v[20:21]
	v_lshlrev_b64_e32 v[122:123], 4, v[18:19]
	v_add_f64_e64 v[19:20], v[0:1], -v[6:7]
	v_add_f64_e32 v[21:22], v[2:3], v[4:5]
	v_add_f64_e64 v[4:5], v[37:38], -v[34:35]
	v_add_f64_e32 v[6:7], v[39:40], v[32:33]
	;; [unrolled: 2-line block ×3, first 2 shown]
	v_add_f64_e64 v[89:90], v[59:60], -v[89:90]
	v_add_f64_e64 v[91:92], v[61:62], -v[91:92]
	s_wait_alu 0xf1ff
	v_add_co_ci_u32_e64 v54, s0, s9, v113, s0
	v_add_co_u32 v35, s0, s8, v114
	s_wait_alu 0xf1ff
	v_add_co_ci_u32_e64 v36, s0, s9, v115, s0
	v_add_co_u32 v33, s0, s8, v30
	v_add_f64_e64 v[93:94], v[63:64], -v[93:94]
	v_add_f64_e64 v[95:96], v[65:66], -v[95:96]
	v_fma_f64 v[112:113], v[43:44], 2.0, -v[108:109]
	v_fma_f64 v[114:115], v[41:42], 2.0, -v[110:111]
	s_wait_alu 0xf1ff
	v_add_co_ci_u32_e64 v34, s0, s9, v31, s0
	v_add_co_u32 v31, s0, s8, v28
	v_add_f64_e64 v[97:98], v[67:68], -v[97:98]
	v_add_f64_e64 v[99:100], v[69:70], -v[99:100]
	v_fma_f64 v[55:56], v[55:56], 2.0, -v[85:86]
	v_fma_f64 v[57:58], v[57:58], 2.0, -v[87:88]
	v_fma_f64 v[41:42], v[47:48], 2.0, -v[75:76]
	s_wait_alu 0xf1ff
	v_add_co_ci_u32_e64 v32, s0, s9, v29, s0
	v_fma_f64 v[43:44], v[45:46], 2.0, -v[77:78]
	v_add_co_u32 v29, s0, s8, v26
	v_add_f64_e64 v[101:102], v[71:72], -v[101:102]
	v_add_f64_e64 v[103:104], v[73:74], -v[103:104]
	s_wait_alu 0xf1ff
	v_add_co_ci_u32_e64 v30, s0, s9, v27, s0
	v_fma_f64 v[0:1], v[0:1], 2.0, -v[19:20]
	v_fma_f64 v[2:3], v[2:3], 2.0, -v[21:22]
	;; [unrolled: 1-line block ×8, first 2 shown]
	v_lshlrev_b64_e32 v[118:119], 4, v[16:17]
	v_add_co_u32 v27, s0, s8, v24
	s_wait_alu 0xf1ff
	v_add_co_ci_u32_e64 v28, s0, s9, v25, s0
	v_add_co_u32 v25, s0, s8, v116
	v_add3_u32 v9, 0, v9, v15
	v_fma_f64 v[63:64], v[63:64], 2.0, -v[93:94]
	v_fma_f64 v[65:66], v[65:66], 2.0, -v[95:96]
	s_wait_alu 0xf1ff
	v_add_co_ci_u32_e64 v26, s0, s9, v117, s0
	v_add_co_u32 v23, s0, s8, v118
	s_wait_alu 0xf1ff
	v_add_co_ci_u32_e64 v24, s0, s9, v119, s0
	v_fma_f64 v[45:46], v[67:68], 2.0, -v[97:98]
	v_fma_f64 v[47:48], v[69:70], 2.0, -v[99:100]
	;; [unrolled: 1-line block ×4, first 2 shown]
	ds_store_b128 v176, v[19:22] offset:19200
	ds_store_b128 v176, v[85:88] offset:12800
	;; [unrolled: 1-line block ×3, first 2 shown]
	ds_store_b128 v176, v[55:58]
	ds_store_b128 v183, v[59:62]
	ds_store_b128 v183, v[37:40] offset:6400
	ds_store_b128 v183, v[89:92] offset:12800
	;; [unrolled: 1-line block ×3, first 2 shown]
	ds_store_b128 v9, v[63:66]
	ds_store_b128 v9, v[112:115] offset:6400
	ds_store_b128 v9, v[93:96] offset:12800
	;; [unrolled: 1-line block ×11, first 2 shown]
	global_wb scope:SCOPE_SE
	s_wait_dscnt 0x0
	s_barrier_signal -1
	s_barrier_wait -1
	global_inv scope:SCOPE_SE
	s_clause 0x2
	global_load_b128 v[0:3], v[53:54], off offset:25440
	global_load_b128 v[4:7], v[35:36], off offset:25440
	;; [unrolled: 1-line block ×3, first 2 shown]
	v_add_co_u32 v21, s0, s8, v120
	s_clause 0x3
	global_load_b128 v[41:44], v[31:32], off offset:25440
	global_load_b128 v[45:48], v[29:30], off offset:25440
	;; [unrolled: 1-line block ×4, first 2 shown]
	s_wait_alu 0xf1ff
	v_add_co_ci_u32_e64 v22, s0, s9, v121, s0
	v_add_co_u32 v19, s0, s8, v122
	s_wait_alu 0xf1ff
	v_add_co_ci_u32_e64 v20, s0, s9, v123, s0
	s_clause 0x2
	global_load_b128 v[59:62], v[23:24], off offset:25440
	global_load_b128 v[63:66], v[21:22], off offset:25440
	;; [unrolled: 1-line block ×3, first 2 shown]
	ds_load_b128 v[71:74], v176 offset:25600
	ds_load_b128 v[75:78], v176 offset:28160
	;; [unrolled: 1-line block ×10, first 2 shown]
	ds_load_b128 v[115:118], v176
	ds_load_b128 v[119:122], v182
	v_lshl_add_u32 v9, v18, 4, 0
	v_cmp_ne_u32_e64 s0, 0, v8
	s_wait_loadcnt_dscnt 0x90b
	v_mul_f64_e32 v[103:104], v[73:74], v[2:3]
	v_mul_f64_e32 v[2:3], v[71:72], v[2:3]
	s_wait_loadcnt_dscnt 0x80a
	v_mul_f64_e32 v[123:124], v[77:78], v[6:7]
	v_mul_f64_e32 v[6:7], v[75:76], v[6:7]
	;; [unrolled: 3-line block ×10, first 2 shown]
	v_fma_f64 v[71:72], v[71:72], v[0:1], -v[103:104]
	v_fma_f64 v[73:74], v[73:74], v[0:1], v[2:3]
	v_fma_f64 v[75:76], v[75:76], v[4:5], -v[123:124]
	v_fma_f64 v[77:78], v[77:78], v[4:5], v[6:7]
	;; [unrolled: 2-line block ×10, first 2 shown]
	ds_load_b128 v[0:3], v183
	ds_load_b128 v[4:7], v106
	;; [unrolled: 1-line block ×3, first 2 shown]
	v_lshl_add_u32 v37, v16, 4, 0
	ds_load_b128 v[42:45], v105
	ds_load_b128 v[46:49], v179
	ds_load_b128 v[15:18], v37
	ds_load_b128 v[55:58], v178
	ds_load_b128 v[59:62], v9
	global_wb scope:SCOPE_SE
	s_wait_dscnt 0x0
	s_barrier_signal -1
	s_barrier_wait -1
	global_inv scope:SCOPE_SE
	v_add_f64_e64 v[63:64], v[115:116], -v[71:72]
	v_add_f64_e64 v[65:66], v[117:118], -v[73:74]
	;; [unrolled: 1-line block ×20, first 2 shown]
	v_fma_f64 v[107:108], v[115:116], 2.0, -v[63:64]
	v_fma_f64 v[109:110], v[117:118], 2.0, -v[65:66]
	;; [unrolled: 1-line block ×20, first 2 shown]
	ds_store_b128 v176, v[63:66] offset:25600
	ds_store_b128 v176, v[107:110]
	ds_store_b128 v183, v[0:3]
	ds_store_b128 v183, v[67:70] offset:25600
	ds_store_b128 v182, v[111:114]
	ds_store_b128 v182, v[71:74] offset:25600
	ds_store_b128 v106, v[4:7]
	ds_store_b128 v106, v[75:78] offset:25600
	ds_store_b128 v181, v[38:41]
	ds_store_b128 v181, v[79:82] offset:25600
	ds_store_b128 v105, v[42:45]
	ds_store_b128 v105, v[83:86] offset:25600
	ds_store_b128 v179, v[46:49]
	ds_store_b128 v179, v[87:90] offset:25600
	ds_store_b128 v37, v[15:18]
	ds_store_b128 v37, v[91:94] offset:25600
	ds_store_b128 v178, v[55:58]
	ds_store_b128 v178, v[95:98] offset:25600
	ds_store_b128 v9, v[59:62]
	ds_store_b128 v9, v[99:102] offset:25600
	global_wb scope:SCOPE_SE
	s_wait_dscnt 0x0
	s_barrier_signal -1
	s_barrier_wait -1
	global_inv scope:SCOPE_SE
	ds_load_b128 v[4:7], v176
	v_sub_nc_u32_e32 v38, 0, v177
                                        ; implicit-def: $vgpr0_vgpr1
                                        ; implicit-def: $vgpr15_vgpr16
                                        ; implicit-def: $vgpr17_vgpr18
	s_and_saveexec_b32 s1, s0
	s_wait_alu 0xfffe
	s_xor_b32 s0, exec_lo, s1
	s_cbranch_execz .LBB0_15
; %bb.14:
	global_load_b128 v[39:42], v[53:54], off offset:51040
	ds_load_b128 v[0:3], v38 offset:51200
	s_wait_dscnt 0x0
	v_add_f64_e64 v[15:16], v[4:5], -v[0:1]
	v_add_f64_e32 v[17:18], v[6:7], v[2:3]
	v_add_f64_e64 v[2:3], v[6:7], -v[2:3]
	v_add_f64_e32 v[0:1], v[4:5], v[0:1]
	s_delay_alu instid0(VALU_DEP_4) | instskip(NEXT) | instid1(VALU_DEP_4)
	v_mul_f64_e32 v[6:7], 0.5, v[15:16]
	v_mul_f64_e32 v[4:5], 0.5, v[17:18]
	s_delay_alu instid0(VALU_DEP_4) | instskip(SKIP_1) | instid1(VALU_DEP_3)
	v_mul_f64_e32 v[2:3], 0.5, v[2:3]
	s_wait_loadcnt 0x0
	v_mul_f64_e32 v[15:16], v[6:7], v[41:42]
	s_delay_alu instid0(VALU_DEP_2) | instskip(SKIP_1) | instid1(VALU_DEP_3)
	v_fma_f64 v[17:18], v[4:5], v[41:42], v[2:3]
	v_fma_f64 v[2:3], v[4:5], v[41:42], -v[2:3]
	v_fma_f64 v[43:44], v[0:1], 0.5, v[15:16]
	v_fma_f64 v[0:1], v[0:1], 0.5, -v[15:16]
	s_delay_alu instid0(VALU_DEP_4) | instskip(NEXT) | instid1(VALU_DEP_4)
	v_fma_f64 v[17:18], -v[39:40], v[6:7], v[17:18]
	v_fma_f64 v[2:3], -v[39:40], v[6:7], v[2:3]
	s_delay_alu instid0(VALU_DEP_4) | instskip(NEXT) | instid1(VALU_DEP_4)
	v_fma_f64 v[15:16], v[4:5], v[39:40], v[43:44]
	v_fma_f64 v[0:1], -v[4:5], v[39:40], v[0:1]
                                        ; implicit-def: $vgpr4_vgpr5
.LBB0_15:
	s_wait_alu 0xfffe
	s_or_saveexec_b32 s0, s0
	v_mul_i32_i24_e32 v14, 0xffffff70, v14
	s_wait_alu 0xfffe
	s_xor_b32 exec_lo, exec_lo, s0
	s_cbranch_execz .LBB0_17
; %bb.16:
	s_wait_dscnt 0x0
	v_add_f64_e32 v[15:16], v[4:5], v[6:7]
	v_add_f64_e64 v[0:1], v[4:5], -v[6:7]
	v_dual_mov_b32 v6, 0 :: v_dual_mov_b32 v17, 0
	v_mov_b32_e32 v18, 0
	s_delay_alu instid0(VALU_DEP_2)
	v_mov_b32_e32 v2, v17
	ds_load_b64 v[4:5], v6 offset:25608
	v_mov_b32_e32 v3, v18
	s_wait_dscnt 0x0
	v_xor_b32_e32 v5, 0x80000000, v5
	ds_store_b64 v6, v[4:5] offset:25608
.LBB0_17:
	s_or_b32 exec_lo, exec_lo, s0
	s_wait_dscnt 0x0
	s_clause 0x1
	global_load_b128 v[4:7], v[35:36], off offset:51040
	global_load_b128 v[33:36], v[33:34], off offset:51040
	v_add_nc_u32_e32 v43, v180, v14
	ds_store_2addr_b64 v176, v[15:16], v[17:18] offset1:1
	ds_store_b128 v38, v[0:3] offset:51200
	ds_load_b128 v[0:3], v43
	ds_load_b128 v[14:17], v38 offset:48640
	s_wait_dscnt 0x0
	v_add_f64_e64 v[39:40], v[0:1], -v[14:15]
	v_add_f64_e32 v[41:42], v[2:3], v[16:17]
	v_add_f64_e64 v[2:3], v[2:3], -v[16:17]
	v_add_f64_e32 v[0:1], v[0:1], v[14:15]
	s_delay_alu instid0(VALU_DEP_4) | instskip(NEXT) | instid1(VALU_DEP_4)
	v_mul_f64_e32 v[16:17], 0.5, v[39:40]
	v_mul_f64_e32 v[39:40], 0.5, v[41:42]
	s_delay_alu instid0(VALU_DEP_4) | instskip(SKIP_1) | instid1(VALU_DEP_3)
	v_mul_f64_e32 v[2:3], 0.5, v[2:3]
	s_wait_loadcnt 0x1
	v_mul_f64_e32 v[14:15], v[16:17], v[6:7]
	s_delay_alu instid0(VALU_DEP_2) | instskip(SKIP_1) | instid1(VALU_DEP_3)
	v_fma_f64 v[41:42], v[39:40], v[6:7], v[2:3]
	v_fma_f64 v[2:3], v[39:40], v[6:7], -v[2:3]
	v_fma_f64 v[6:7], v[0:1], 0.5, v[14:15]
	v_fma_f64 v[0:1], v[0:1], 0.5, -v[14:15]
	s_delay_alu instid0(VALU_DEP_4) | instskip(NEXT) | instid1(VALU_DEP_4)
	v_fma_f64 v[14:15], -v[4:5], v[16:17], v[41:42]
	v_fma_f64 v[16:17], -v[4:5], v[16:17], v[2:3]
	s_delay_alu instid0(VALU_DEP_4) | instskip(NEXT) | instid1(VALU_DEP_4)
	v_fma_f64 v[6:7], v[39:40], v[4:5], v[6:7]
	v_fma_f64 v[4:5], -v[39:40], v[4:5], v[0:1]
	global_load_b128 v[0:3], v[31:32], off offset:51040
	ds_store_b64 v43, v[14:15] offset:8
	ds_store_b64 v38, v[16:17] offset:48648
	ds_store_b64 v43, v[6:7]
	ds_store_b64 v38, v[4:5] offset:48640
	ds_load_b128 v[4:7], v182
	ds_load_b128 v[14:17], v38 offset:46080
	s_wait_dscnt 0x0
	v_add_f64_e64 v[31:32], v[4:5], -v[14:15]
	v_add_f64_e32 v[39:40], v[6:7], v[16:17]
	v_add_f64_e64 v[6:7], v[6:7], -v[16:17]
	v_add_f64_e32 v[4:5], v[4:5], v[14:15]
	s_delay_alu instid0(VALU_DEP_4) | instskip(NEXT) | instid1(VALU_DEP_4)
	v_mul_f64_e32 v[16:17], 0.5, v[31:32]
	v_mul_f64_e32 v[31:32], 0.5, v[39:40]
	s_delay_alu instid0(VALU_DEP_4) | instskip(SKIP_1) | instid1(VALU_DEP_3)
	v_mul_f64_e32 v[6:7], 0.5, v[6:7]
	s_wait_loadcnt 0x1
	v_mul_f64_e32 v[14:15], v[16:17], v[35:36]
	s_delay_alu instid0(VALU_DEP_2) | instskip(SKIP_1) | instid1(VALU_DEP_3)
	v_fma_f64 v[39:40], v[31:32], v[35:36], v[6:7]
	v_fma_f64 v[6:7], v[31:32], v[35:36], -v[6:7]
	v_fma_f64 v[35:36], v[4:5], 0.5, v[14:15]
	v_fma_f64 v[4:5], v[4:5], 0.5, -v[14:15]
	s_delay_alu instid0(VALU_DEP_4) | instskip(NEXT) | instid1(VALU_DEP_4)
	v_fma_f64 v[39:40], -v[33:34], v[16:17], v[39:40]
	v_fma_f64 v[6:7], -v[33:34], v[16:17], v[6:7]
	global_load_b128 v[14:17], v[29:30], off offset:51040
	v_fma_f64 v[35:36], v[31:32], v[33:34], v[35:36]
	v_fma_f64 v[4:5], -v[31:32], v[33:34], v[4:5]
	ds_store_2addr_b64 v182, v[35:36], v[39:40] offset1:1
	ds_store_b128 v38, v[4:7] offset:46080
	ds_load_b128 v[4:7], v106
	ds_load_b128 v[29:32], v38 offset:43520
	s_wait_dscnt 0x0
	v_add_f64_e64 v[33:34], v[4:5], -v[29:30]
	v_add_f64_e32 v[35:36], v[6:7], v[31:32]
	v_add_f64_e64 v[6:7], v[6:7], -v[31:32]
	v_add_f64_e32 v[4:5], v[4:5], v[29:30]
	s_delay_alu instid0(VALU_DEP_4) | instskip(NEXT) | instid1(VALU_DEP_4)
	v_mul_f64_e32 v[31:32], 0.5, v[33:34]
	v_mul_f64_e32 v[33:34], 0.5, v[35:36]
	s_delay_alu instid0(VALU_DEP_4) | instskip(SKIP_1) | instid1(VALU_DEP_3)
	v_mul_f64_e32 v[6:7], 0.5, v[6:7]
	s_wait_loadcnt 0x1
	v_mul_f64_e32 v[29:30], v[31:32], v[2:3]
	s_delay_alu instid0(VALU_DEP_2) | instskip(SKIP_1) | instid1(VALU_DEP_3)
	v_fma_f64 v[35:36], v[33:34], v[2:3], v[6:7]
	v_fma_f64 v[2:3], v[33:34], v[2:3], -v[6:7]
	v_fma_f64 v[6:7], v[4:5], 0.5, v[29:30]
	v_fma_f64 v[4:5], v[4:5], 0.5, -v[29:30]
	s_delay_alu instid0(VALU_DEP_4) | instskip(NEXT) | instid1(VALU_DEP_4)
	v_fma_f64 v[29:30], -v[0:1], v[31:32], v[35:36]
	v_fma_f64 v[2:3], -v[0:1], v[31:32], v[2:3]
	s_delay_alu instid0(VALU_DEP_4) | instskip(NEXT) | instid1(VALU_DEP_4)
	v_fma_f64 v[31:32], v[33:34], v[0:1], v[6:7]
	v_fma_f64 v[0:1], -v[33:34], v[0:1], v[4:5]
	global_load_b128 v[4:7], v[27:28], off offset:51040
	ds_store_2addr_b64 v106, v[31:32], v[29:30] offset1:1
	ds_store_b128 v38, v[0:3] offset:43520
	ds_load_b128 v[0:3], v181
	ds_load_b128 v[27:30], v38 offset:40960
	s_wait_dscnt 0x0
	v_add_f64_e64 v[31:32], v[0:1], -v[27:28]
	v_add_f64_e32 v[33:34], v[2:3], v[29:30]
	v_add_f64_e64 v[2:3], v[2:3], -v[29:30]
	v_add_f64_e32 v[0:1], v[0:1], v[27:28]
	s_delay_alu instid0(VALU_DEP_4) | instskip(NEXT) | instid1(VALU_DEP_4)
	v_mul_f64_e32 v[29:30], 0.5, v[31:32]
	v_mul_f64_e32 v[31:32], 0.5, v[33:34]
	s_delay_alu instid0(VALU_DEP_4) | instskip(SKIP_1) | instid1(VALU_DEP_3)
	v_mul_f64_e32 v[2:3], 0.5, v[2:3]
	s_wait_loadcnt 0x1
	v_mul_f64_e32 v[27:28], v[29:30], v[16:17]
	s_delay_alu instid0(VALU_DEP_2) | instskip(SKIP_1) | instid1(VALU_DEP_3)
	v_fma_f64 v[33:34], v[31:32], v[16:17], v[2:3]
	v_fma_f64 v[2:3], v[31:32], v[16:17], -v[2:3]
	v_fma_f64 v[16:17], v[0:1], 0.5, v[27:28]
	v_fma_f64 v[0:1], v[0:1], 0.5, -v[27:28]
	s_delay_alu instid0(VALU_DEP_4) | instskip(NEXT) | instid1(VALU_DEP_4)
	v_fma_f64 v[27:28], -v[14:15], v[29:30], v[33:34]
	v_fma_f64 v[2:3], -v[14:15], v[29:30], v[2:3]
	s_delay_alu instid0(VALU_DEP_4) | instskip(NEXT) | instid1(VALU_DEP_4)
	v_fma_f64 v[29:30], v[31:32], v[14:15], v[16:17]
	v_fma_f64 v[0:1], -v[31:32], v[14:15], v[0:1]
	global_load_b128 v[14:17], v[25:26], off offset:51040
	ds_store_2addr_b64 v181, v[29:30], v[27:28] offset1:1
	ds_store_b128 v38, v[0:3] offset:40960
	ds_load_b128 v[0:3], v105
	ds_load_b128 v[25:28], v38 offset:38400
	s_wait_dscnt 0x0
	v_add_f64_e64 v[29:30], v[0:1], -v[25:26]
	v_add_f64_e32 v[31:32], v[2:3], v[27:28]
	v_add_f64_e64 v[2:3], v[2:3], -v[27:28]
	v_add_f64_e32 v[0:1], v[0:1], v[25:26]
	s_delay_alu instid0(VALU_DEP_4) | instskip(NEXT) | instid1(VALU_DEP_4)
	v_mul_f64_e32 v[27:28], 0.5, v[29:30]
	v_mul_f64_e32 v[29:30], 0.5, v[31:32]
	s_delay_alu instid0(VALU_DEP_4) | instskip(SKIP_1) | instid1(VALU_DEP_3)
	v_mul_f64_e32 v[2:3], 0.5, v[2:3]
	s_wait_loadcnt 0x1
	v_mul_f64_e32 v[25:26], v[27:28], v[6:7]
	s_delay_alu instid0(VALU_DEP_2) | instskip(SKIP_1) | instid1(VALU_DEP_3)
	v_fma_f64 v[31:32], v[29:30], v[6:7], v[2:3]
	v_fma_f64 v[2:3], v[29:30], v[6:7], -v[2:3]
	v_fma_f64 v[6:7], v[0:1], 0.5, v[25:26]
	v_fma_f64 v[0:1], v[0:1], 0.5, -v[25:26]
	s_delay_alu instid0(VALU_DEP_4) | instskip(NEXT) | instid1(VALU_DEP_4)
	v_fma_f64 v[25:26], -v[4:5], v[27:28], v[31:32]
	v_fma_f64 v[2:3], -v[4:5], v[27:28], v[2:3]
	s_delay_alu instid0(VALU_DEP_4) | instskip(NEXT) | instid1(VALU_DEP_4)
	v_fma_f64 v[27:28], v[29:30], v[4:5], v[6:7]
	v_fma_f64 v[0:1], -v[29:30], v[4:5], v[0:1]
	global_load_b128 v[4:7], v[23:24], off offset:51040
	ds_store_2addr_b64 v105, v[27:28], v[25:26] offset1:1
	ds_store_b128 v38, v[0:3] offset:38400
	ds_load_b128 v[0:3], v179
	ds_load_b128 v[23:26], v38 offset:35840
	s_wait_dscnt 0x0
	v_add_f64_e64 v[27:28], v[0:1], -v[23:24]
	v_add_f64_e32 v[29:30], v[2:3], v[25:26]
	v_add_f64_e64 v[2:3], v[2:3], -v[25:26]
	v_add_f64_e32 v[0:1], v[0:1], v[23:24]
	s_delay_alu instid0(VALU_DEP_4) | instskip(NEXT) | instid1(VALU_DEP_4)
	v_mul_f64_e32 v[25:26], 0.5, v[27:28]
	v_mul_f64_e32 v[27:28], 0.5, v[29:30]
	s_delay_alu instid0(VALU_DEP_4) | instskip(SKIP_1) | instid1(VALU_DEP_3)
	v_mul_f64_e32 v[2:3], 0.5, v[2:3]
	s_wait_loadcnt 0x1
	v_mul_f64_e32 v[23:24], v[25:26], v[16:17]
	s_delay_alu instid0(VALU_DEP_2) | instskip(SKIP_1) | instid1(VALU_DEP_3)
	v_fma_f64 v[29:30], v[27:28], v[16:17], v[2:3]
	v_fma_f64 v[2:3], v[27:28], v[16:17], -v[2:3]
	v_fma_f64 v[16:17], v[0:1], 0.5, v[23:24]
	v_fma_f64 v[0:1], v[0:1], 0.5, -v[23:24]
	s_delay_alu instid0(VALU_DEP_4) | instskip(NEXT) | instid1(VALU_DEP_4)
	v_fma_f64 v[23:24], -v[14:15], v[25:26], v[29:30]
	v_fma_f64 v[2:3], -v[14:15], v[25:26], v[2:3]
	s_delay_alu instid0(VALU_DEP_4) | instskip(NEXT) | instid1(VALU_DEP_4)
	v_fma_f64 v[25:26], v[27:28], v[14:15], v[16:17]
	v_fma_f64 v[0:1], -v[27:28], v[14:15], v[0:1]
	global_load_b128 v[14:17], v[21:22], off offset:51040
	ds_store_2addr_b64 v179, v[25:26], v[23:24] offset1:1
	ds_store_b128 v38, v[0:3] offset:35840
	ds_load_b128 v[0:3], v37
	ds_load_b128 v[21:24], v38 offset:33280
	s_wait_dscnt 0x0
	v_add_f64_e64 v[25:26], v[0:1], -v[21:22]
	v_add_f64_e32 v[27:28], v[2:3], v[23:24]
	v_add_f64_e64 v[2:3], v[2:3], -v[23:24]
	v_add_f64_e32 v[0:1], v[0:1], v[21:22]
	s_delay_alu instid0(VALU_DEP_4) | instskip(NEXT) | instid1(VALU_DEP_4)
	v_mul_f64_e32 v[23:24], 0.5, v[25:26]
	v_mul_f64_e32 v[25:26], 0.5, v[27:28]
	s_delay_alu instid0(VALU_DEP_4) | instskip(SKIP_1) | instid1(VALU_DEP_3)
	v_mul_f64_e32 v[2:3], 0.5, v[2:3]
	s_wait_loadcnt 0x1
	v_mul_f64_e32 v[21:22], v[23:24], v[6:7]
	s_delay_alu instid0(VALU_DEP_2) | instskip(SKIP_1) | instid1(VALU_DEP_3)
	v_fma_f64 v[27:28], v[25:26], v[6:7], v[2:3]
	v_fma_f64 v[2:3], v[25:26], v[6:7], -v[2:3]
	v_fma_f64 v[6:7], v[0:1], 0.5, v[21:22]
	v_fma_f64 v[0:1], v[0:1], 0.5, -v[21:22]
	s_delay_alu instid0(VALU_DEP_4) | instskip(NEXT) | instid1(VALU_DEP_4)
	v_fma_f64 v[21:22], -v[4:5], v[23:24], v[27:28]
	v_fma_f64 v[2:3], -v[4:5], v[23:24], v[2:3]
	s_delay_alu instid0(VALU_DEP_4) | instskip(NEXT) | instid1(VALU_DEP_4)
	v_fma_f64 v[23:24], v[25:26], v[4:5], v[6:7]
	v_fma_f64 v[0:1], -v[25:26], v[4:5], v[0:1]
	global_load_b128 v[4:7], v[19:20], off offset:51040
	ds_store_2addr_b64 v37, v[23:24], v[21:22] offset1:1
	ds_store_b128 v38, v[0:3] offset:33280
	ds_load_b128 v[0:3], v178
	ds_load_b128 v[18:21], v38 offset:30720
	s_wait_dscnt 0x0
	v_add_f64_e64 v[22:23], v[0:1], -v[18:19]
	v_add_f64_e32 v[24:25], v[2:3], v[20:21]
	v_add_f64_e64 v[2:3], v[2:3], -v[20:21]
	v_add_f64_e32 v[0:1], v[0:1], v[18:19]
	s_delay_alu instid0(VALU_DEP_4) | instskip(NEXT) | instid1(VALU_DEP_4)
	v_mul_f64_e32 v[20:21], 0.5, v[22:23]
	v_mul_f64_e32 v[22:23], 0.5, v[24:25]
	s_delay_alu instid0(VALU_DEP_4) | instskip(SKIP_1) | instid1(VALU_DEP_3)
	v_mul_f64_e32 v[2:3], 0.5, v[2:3]
	s_wait_loadcnt 0x1
	v_mul_f64_e32 v[18:19], v[20:21], v[16:17]
	s_delay_alu instid0(VALU_DEP_2) | instskip(SKIP_1) | instid1(VALU_DEP_3)
	v_fma_f64 v[24:25], v[22:23], v[16:17], v[2:3]
	v_fma_f64 v[2:3], v[22:23], v[16:17], -v[2:3]
	v_fma_f64 v[16:17], v[0:1], 0.5, v[18:19]
	v_fma_f64 v[0:1], v[0:1], 0.5, -v[18:19]
	s_delay_alu instid0(VALU_DEP_4) | instskip(NEXT) | instid1(VALU_DEP_4)
	v_fma_f64 v[18:19], -v[14:15], v[20:21], v[24:25]
	v_fma_f64 v[2:3], -v[14:15], v[20:21], v[2:3]
	s_delay_alu instid0(VALU_DEP_4) | instskip(NEXT) | instid1(VALU_DEP_4)
	v_fma_f64 v[16:17], v[22:23], v[14:15], v[16:17]
	v_fma_f64 v[0:1], -v[22:23], v[14:15], v[0:1]
	ds_store_2addr_b64 v178, v[16:17], v[18:19] offset1:1
	ds_store_b128 v38, v[0:3] offset:30720
	ds_load_b128 v[0:3], v9
	ds_load_b128 v[14:17], v38 offset:28160
	s_wait_dscnt 0x0
	v_add_f64_e64 v[18:19], v[0:1], -v[14:15]
	v_add_f64_e32 v[20:21], v[2:3], v[16:17]
	v_add_f64_e64 v[2:3], v[2:3], -v[16:17]
	v_add_f64_e32 v[0:1], v[0:1], v[14:15]
	s_delay_alu instid0(VALU_DEP_4) | instskip(NEXT) | instid1(VALU_DEP_4)
	v_mul_f64_e32 v[16:17], 0.5, v[18:19]
	v_mul_f64_e32 v[18:19], 0.5, v[20:21]
	s_delay_alu instid0(VALU_DEP_4) | instskip(SKIP_1) | instid1(VALU_DEP_3)
	v_mul_f64_e32 v[2:3], 0.5, v[2:3]
	s_wait_loadcnt 0x0
	v_mul_f64_e32 v[14:15], v[16:17], v[6:7]
	s_delay_alu instid0(VALU_DEP_2) | instskip(SKIP_1) | instid1(VALU_DEP_3)
	v_fma_f64 v[20:21], v[18:19], v[6:7], v[2:3]
	v_fma_f64 v[2:3], v[18:19], v[6:7], -v[2:3]
	v_fma_f64 v[6:7], v[0:1], 0.5, v[14:15]
	v_fma_f64 v[0:1], v[0:1], 0.5, -v[14:15]
	s_delay_alu instid0(VALU_DEP_4) | instskip(NEXT) | instid1(VALU_DEP_4)
	v_fma_f64 v[14:15], -v[4:5], v[16:17], v[20:21]
	v_fma_f64 v[2:3], -v[4:5], v[16:17], v[2:3]
	s_delay_alu instid0(VALU_DEP_4) | instskip(NEXT) | instid1(VALU_DEP_4)
	v_fma_f64 v[6:7], v[18:19], v[4:5], v[6:7]
	v_fma_f64 v[0:1], -v[18:19], v[4:5], v[0:1]
	ds_store_2addr_b64 v9, v[6:7], v[14:15] offset1:1
	ds_store_b128 v38, v[0:3] offset:28160
	global_wb scope:SCOPE_SE
	s_wait_dscnt 0x0
	s_barrier_signal -1
	s_barrier_wait -1
	global_inv scope:SCOPE_SE
	s_and_saveexec_b32 s0, vcc_lo
	s_cbranch_execz .LBB0_20
; %bb.18:
	v_mul_lo_u32 v2, s3, v12
	v_mul_lo_u32 v3, s2, v13
	v_mad_co_u64_u32 v[0:1], null, s2, v12, 0
	v_dual_mov_b32 v9, 0 :: v_dual_add_nc_u32 v18, 0xa0, v8
	v_lshlrev_b64_e32 v[6:7], 4, v[10:11]
	v_lshl_add_u32 v34, v8, 4, 0
	s_delay_alu instid0(VALU_DEP_3)
	v_dual_mov_b32 v19, v9 :: v_dual_add_nc_u32 v20, 0x140, v8
	v_add3_u32 v1, v1, v3, v2
	v_lshlrev_b64_e32 v[22:23], 4, v[8:9]
	ds_load_b128 v[2:5], v34
	v_dual_mov_b32 v21, v9 :: v_dual_add_nc_u32 v24, 0x1e0, v8
	v_lshlrev_b64_e32 v[0:1], 4, v[0:1]
	ds_load_b128 v[10:13], v34 offset:2560
	ds_load_b128 v[14:17], v34 offset:5120
	v_dual_mov_b32 v25, v9 :: v_dual_add_nc_u32 v32, 0x280, v8
	v_mov_b32_e32 v33, v9
	v_add_co_u32 v0, vcc_lo, s6, v0
	s_wait_alu 0xfffd
	v_add_co_ci_u32_e32 v1, vcc_lo, s7, v1, vcc_lo
	v_lshlrev_b64_e32 v[24:25], 4, v[24:25]
	s_delay_alu instid0(VALU_DEP_3) | instskip(SKIP_1) | instid1(VALU_DEP_3)
	v_add_co_u32 v0, vcc_lo, v0, v6
	s_wait_alu 0xfffd
	v_add_co_ci_u32_e32 v1, vcc_lo, v1, v7, vcc_lo
	v_lshlrev_b64_e32 v[6:7], 4, v[18:19]
	s_delay_alu instid0(VALU_DEP_3) | instskip(SKIP_1) | instid1(VALU_DEP_3)
	v_add_co_u32 v26, vcc_lo, v0, v22
	s_wait_alu 0xfffd
	v_add_co_ci_u32_e32 v27, vcc_lo, v1, v23, vcc_lo
	v_lshlrev_b64_e32 v[22:23], 4, v[20:21]
	ds_load_b128 v[18:21], v34 offset:7680
	v_add_co_u32 v6, vcc_lo, v0, v6
	s_wait_alu 0xfffd
	v_add_co_ci_u32_e32 v7, vcc_lo, v1, v7, vcc_lo
	v_add_co_u32 v28, vcc_lo, v0, v22
	s_wait_alu 0xfffd
	v_add_co_ci_u32_e32 v29, vcc_lo, v1, v23, vcc_lo
	;; [unrolled: 3-line block ×3, first 2 shown]
	ds_load_b128 v[22:25], v34 offset:48640
	s_wait_dscnt 0x4
	global_store_b128 v[26:27], v[2:5], off
	s_wait_dscnt 0x3
	global_store_b128 v[6:7], v[10:13], off
	v_dual_mov_b32 v11, v9 :: v_dual_add_nc_u32 v10, 0x320, v8
	ds_load_b128 v[2:5], v34 offset:10240
	s_wait_dscnt 0x3
	global_store_b128 v[28:29], v[14:17], off
	s_wait_dscnt 0x2
	global_store_b128 v[30:31], v[18:21], off
	v_dual_mov_b32 v19, v9 :: v_dual_add_nc_u32 v18, 0x3c0, v8
	v_add_nc_u32_e32 v30, 0x460, v8
	v_lshlrev_b64_e32 v[26:27], 4, v[10:11]
	ds_load_b128 v[10:13], v34 offset:12800
	ds_load_b128 v[14:17], v34 offset:15360
	v_lshlrev_b64_e32 v[6:7], 4, v[32:33]
	v_lshlrev_b64_e32 v[28:29], 4, v[18:19]
	ds_load_b128 v[18:21], v34 offset:17920
	v_dual_mov_b32 v31, v9 :: v_dual_add_nc_u32 v32, 0x500, v8
	v_add_co_u32 v6, vcc_lo, v0, v6
	s_wait_alu 0xfffd
	v_add_co_ci_u32_e32 v7, vcc_lo, v1, v7, vcc_lo
	v_add_co_u32 v26, vcc_lo, v0, v26
	v_lshlrev_b64_e32 v[30:31], 4, v[30:31]
	s_wait_alu 0xfffd
	v_add_co_ci_u32_e32 v27, vcc_lo, v1, v27, vcc_lo
	v_add_co_u32 v28, vcc_lo, v0, v28
	s_wait_alu 0xfffd
	v_add_co_ci_u32_e32 v29, vcc_lo, v1, v29, vcc_lo
	v_add_co_u32 v30, vcc_lo, v0, v30
	s_wait_alu 0xfffd
	v_add_co_ci_u32_e32 v31, vcc_lo, v1, v31, vcc_lo
	s_wait_dscnt 0x3
	global_store_b128 v[6:7], v[2:5], off
	s_wait_dscnt 0x2
	global_store_b128 v[26:27], v[10:13], off
	v_dual_mov_b32 v11, v9 :: v_dual_add_nc_u32 v10, 0x5a0, v8
	ds_load_b128 v[2:5], v34 offset:20480
	s_wait_dscnt 0x2
	global_store_b128 v[28:29], v[14:17], off
	s_wait_dscnt 0x1
	global_store_b128 v[30:31], v[18:21], off
	v_dual_mov_b32 v19, v9 :: v_dual_add_nc_u32 v18, 0x640, v8
	v_lshlrev_b64_e32 v[26:27], 4, v[10:11]
	ds_load_b128 v[10:13], v34 offset:23040
	ds_load_b128 v[14:17], v34 offset:25600
	v_lshlrev_b64_e32 v[6:7], 4, v[32:33]
	v_dual_mov_b32 v31, v9 :: v_dual_add_nc_u32 v30, 0x6e0, v8
	v_lshlrev_b64_e32 v[28:29], 4, v[18:19]
	ds_load_b128 v[18:21], v34 offset:28160
	v_add_nc_u32_e32 v32, 0x780, v8
	v_add_co_u32 v6, vcc_lo, v0, v6
	s_wait_alu 0xfffd
	v_add_co_ci_u32_e32 v7, vcc_lo, v1, v7, vcc_lo
	v_add_co_u32 v26, vcc_lo, v0, v26
	v_lshlrev_b64_e32 v[30:31], 4, v[30:31]
	s_wait_alu 0xfffd
	v_add_co_ci_u32_e32 v27, vcc_lo, v1, v27, vcc_lo
	v_add_co_u32 v28, vcc_lo, v0, v28
	s_wait_alu 0xfffd
	v_add_co_ci_u32_e32 v29, vcc_lo, v1, v29, vcc_lo
	v_add_co_u32 v30, vcc_lo, v0, v30
	s_wait_alu 0xfffd
	v_add_co_ci_u32_e32 v31, vcc_lo, v1, v31, vcc_lo
	s_wait_dscnt 0x3
	global_store_b128 v[6:7], v[2:5], off
	s_wait_dscnt 0x2
	global_store_b128 v[26:27], v[10:13], off
	v_dual_mov_b32 v11, v9 :: v_dual_add_nc_u32 v10, 0x820, v8
	ds_load_b128 v[2:5], v34 offset:30720
	s_wait_dscnt 0x2
	global_store_b128 v[28:29], v[14:17], off
	s_wait_dscnt 0x1
	global_store_b128 v[30:31], v[18:21], off
	v_mov_b32_e32 v19, v9
	v_lshlrev_b64_e32 v[6:7], 4, v[32:33]
	v_lshlrev_b64_e32 v[26:27], 4, v[10:11]
	ds_load_b128 v[10:13], v34 offset:33280
	ds_load_b128 v[14:17], v34 offset:35840
	v_dual_mov_b32 v31, v9 :: v_dual_add_nc_u32 v18, 0x8c0, v8
	v_add_nc_u32_e32 v30, 0x960, v8
	v_add_co_u32 v6, vcc_lo, v0, v6
	s_wait_alu 0xfffd
	v_add_co_ci_u32_e32 v7, vcc_lo, v1, v7, vcc_lo
	v_lshlrev_b64_e32 v[28:29], 4, v[18:19]
	ds_load_b128 v[18:21], v34 offset:38400
	v_add_co_u32 v26, vcc_lo, v0, v26
	s_wait_alu 0xfffd
	v_add_co_ci_u32_e32 v27, vcc_lo, v1, v27, vcc_lo
	s_wait_dscnt 0x3
	global_store_b128 v[6:7], v[2:5], off
	s_wait_dscnt 0x2
	global_store_b128 v[26:27], v[10:13], off
	v_mov_b32_e32 v11, v9
	v_lshlrev_b64_e32 v[30:31], 4, v[30:31]
	v_add_co_u32 v28, vcc_lo, v0, v28
	s_wait_alu 0xfffd
	v_add_co_ci_u32_e32 v29, vcc_lo, v1, v29, vcc_lo
	v_add_nc_u32_e32 v32, 0xa00, v8
	s_delay_alu instid0(VALU_DEP_4)
	v_add_co_u32 v30, vcc_lo, v0, v30
	s_wait_alu 0xfffd
	v_add_co_ci_u32_e32 v31, vcc_lo, v1, v31, vcc_lo
	v_dual_mov_b32 v27, v9 :: v_dual_add_nc_u32 v10, 0xaa0, v8
	ds_load_b128 v[2:5], v34 offset:40960
	s_wait_dscnt 0x2
	global_store_b128 v[28:29], v[14:17], off
	s_wait_dscnt 0x1
	global_store_b128 v[30:31], v[18:21], off
	v_mov_b32_e32 v19, v9
	v_lshlrev_b64_e32 v[6:7], 4, v[32:33]
	v_add_nc_u32_e32 v18, 0xb40, v8
	v_lshlrev_b64_e32 v[20:21], 4, v[10:11]
	ds_load_b128 v[10:13], v34 offset:43520
	ds_load_b128 v[14:17], v34 offset:46080
	v_add_nc_u32_e32 v26, 0xbe0, v8
	v_add_co_u32 v6, vcc_lo, v0, v6
	v_lshlrev_b64_e32 v[18:19], 4, v[18:19]
	s_wait_alu 0xfffd
	v_add_co_ci_u32_e32 v7, vcc_lo, v1, v7, vcc_lo
	v_add_co_u32 v20, vcc_lo, v0, v20
	v_lshlrev_b64_e32 v[26:27], 4, v[26:27]
	s_wait_alu 0xfffd
	v_add_co_ci_u32_e32 v21, vcc_lo, v1, v21, vcc_lo
	v_add_co_u32 v18, vcc_lo, v0, v18
	s_wait_alu 0xfffd
	v_add_co_ci_u32_e32 v19, vcc_lo, v1, v19, vcc_lo
	v_add_co_u32 v26, vcc_lo, v0, v26
	s_wait_alu 0xfffd
	v_add_co_ci_u32_e32 v27, vcc_lo, v1, v27, vcc_lo
	v_cmp_eq_u32_e32 vcc_lo, 0x9f, v8
	s_wait_dscnt 0x2
	global_store_b128 v[6:7], v[2:5], off
	s_wait_dscnt 0x1
	global_store_b128 v[20:21], v[10:13], off
	s_wait_dscnt 0x0
	s_clause 0x1
	global_store_b128 v[18:19], v[14:17], off
	global_store_b128 v[26:27], v[22:25], off
	s_and_b32 exec_lo, exec_lo, vcc_lo
	s_cbranch_execz .LBB0_20
; %bb.19:
	ds_load_b128 v[2:5], v9 offset:51200
	s_wait_dscnt 0x0
	global_store_b128 v[0:1], v[2:5], off offset:51200
.LBB0_20:
	s_nop 0
	s_sendmsg sendmsg(MSG_DEALLOC_VGPRS)
	s_endpgm
	.section	.rodata,"a",@progbits
	.p2align	6, 0x0
	.amdhsa_kernel fft_rtc_fwd_len3200_factors_10_10_4_4_2_wgs_160_tpt_160_halfLds_dp_op_CI_CI_unitstride_sbrr_R2C_dirReg
		.amdhsa_group_segment_fixed_size 0
		.amdhsa_private_segment_fixed_size 0
		.amdhsa_kernarg_size 104
		.amdhsa_user_sgpr_count 2
		.amdhsa_user_sgpr_dispatch_ptr 0
		.amdhsa_user_sgpr_queue_ptr 0
		.amdhsa_user_sgpr_kernarg_segment_ptr 1
		.amdhsa_user_sgpr_dispatch_id 0
		.amdhsa_user_sgpr_private_segment_size 0
		.amdhsa_wavefront_size32 1
		.amdhsa_uses_dynamic_stack 0
		.amdhsa_enable_private_segment 0
		.amdhsa_system_sgpr_workgroup_id_x 1
		.amdhsa_system_sgpr_workgroup_id_y 0
		.amdhsa_system_sgpr_workgroup_id_z 0
		.amdhsa_system_sgpr_workgroup_info 0
		.amdhsa_system_vgpr_workitem_id 0
		.amdhsa_next_free_vgpr 214
		.amdhsa_next_free_sgpr 39
		.amdhsa_reserve_vcc 1
		.amdhsa_float_round_mode_32 0
		.amdhsa_float_round_mode_16_64 0
		.amdhsa_float_denorm_mode_32 3
		.amdhsa_float_denorm_mode_16_64 3
		.amdhsa_fp16_overflow 0
		.amdhsa_workgroup_processor_mode 1
		.amdhsa_memory_ordered 1
		.amdhsa_forward_progress 0
		.amdhsa_round_robin_scheduling 0
		.amdhsa_exception_fp_ieee_invalid_op 0
		.amdhsa_exception_fp_denorm_src 0
		.amdhsa_exception_fp_ieee_div_zero 0
		.amdhsa_exception_fp_ieee_overflow 0
		.amdhsa_exception_fp_ieee_underflow 0
		.amdhsa_exception_fp_ieee_inexact 0
		.amdhsa_exception_int_div_zero 0
	.end_amdhsa_kernel
	.text
.Lfunc_end0:
	.size	fft_rtc_fwd_len3200_factors_10_10_4_4_2_wgs_160_tpt_160_halfLds_dp_op_CI_CI_unitstride_sbrr_R2C_dirReg, .Lfunc_end0-fft_rtc_fwd_len3200_factors_10_10_4_4_2_wgs_160_tpt_160_halfLds_dp_op_CI_CI_unitstride_sbrr_R2C_dirReg
                                        ; -- End function
	.section	.AMDGPU.csdata,"",@progbits
; Kernel info:
; codeLenInByte = 16512
; NumSgprs: 41
; NumVgprs: 214
; ScratchSize: 0
; MemoryBound: 0
; FloatMode: 240
; IeeeMode: 1
; LDSByteSize: 0 bytes/workgroup (compile time only)
; SGPRBlocks: 5
; VGPRBlocks: 26
; NumSGPRsForWavesPerEU: 41
; NumVGPRsForWavesPerEU: 214
; Occupancy: 7
; WaveLimiterHint : 1
; COMPUTE_PGM_RSRC2:SCRATCH_EN: 0
; COMPUTE_PGM_RSRC2:USER_SGPR: 2
; COMPUTE_PGM_RSRC2:TRAP_HANDLER: 0
; COMPUTE_PGM_RSRC2:TGID_X_EN: 1
; COMPUTE_PGM_RSRC2:TGID_Y_EN: 0
; COMPUTE_PGM_RSRC2:TGID_Z_EN: 0
; COMPUTE_PGM_RSRC2:TIDIG_COMP_CNT: 0
	.text
	.p2alignl 7, 3214868480
	.fill 96, 4, 3214868480
	.type	__hip_cuid_5dee6607a3d4df0d,@object ; @__hip_cuid_5dee6607a3d4df0d
	.section	.bss,"aw",@nobits
	.globl	__hip_cuid_5dee6607a3d4df0d
__hip_cuid_5dee6607a3d4df0d:
	.byte	0                               ; 0x0
	.size	__hip_cuid_5dee6607a3d4df0d, 1

	.ident	"AMD clang version 19.0.0git (https://github.com/RadeonOpenCompute/llvm-project roc-6.4.0 25133 c7fe45cf4b819c5991fe208aaa96edf142730f1d)"
	.section	".note.GNU-stack","",@progbits
	.addrsig
	.addrsig_sym __hip_cuid_5dee6607a3d4df0d
	.amdgpu_metadata
---
amdhsa.kernels:
  - .args:
      - .actual_access:  read_only
        .address_space:  global
        .offset:         0
        .size:           8
        .value_kind:     global_buffer
      - .offset:         8
        .size:           8
        .value_kind:     by_value
      - .actual_access:  read_only
        .address_space:  global
        .offset:         16
        .size:           8
        .value_kind:     global_buffer
      - .actual_access:  read_only
        .address_space:  global
        .offset:         24
        .size:           8
        .value_kind:     global_buffer
      - .actual_access:  read_only
        .address_space:  global
        .offset:         32
        .size:           8
        .value_kind:     global_buffer
      - .offset:         40
        .size:           8
        .value_kind:     by_value
      - .actual_access:  read_only
        .address_space:  global
        .offset:         48
        .size:           8
        .value_kind:     global_buffer
      - .actual_access:  read_only
        .address_space:  global
        .offset:         56
        .size:           8
        .value_kind:     global_buffer
      - .offset:         64
        .size:           4
        .value_kind:     by_value
      - .actual_access:  read_only
        .address_space:  global
        .offset:         72
        .size:           8
        .value_kind:     global_buffer
      - .actual_access:  read_only
        .address_space:  global
        .offset:         80
        .size:           8
        .value_kind:     global_buffer
      - .actual_access:  read_only
        .address_space:  global
        .offset:         88
        .size:           8
        .value_kind:     global_buffer
      - .actual_access:  write_only
        .address_space:  global
        .offset:         96
        .size:           8
        .value_kind:     global_buffer
    .group_segment_fixed_size: 0
    .kernarg_segment_align: 8
    .kernarg_segment_size: 104
    .language:       OpenCL C
    .language_version:
      - 2
      - 0
    .max_flat_workgroup_size: 160
    .name:           fft_rtc_fwd_len3200_factors_10_10_4_4_2_wgs_160_tpt_160_halfLds_dp_op_CI_CI_unitstride_sbrr_R2C_dirReg
    .private_segment_fixed_size: 0
    .sgpr_count:     41
    .sgpr_spill_count: 0
    .symbol:         fft_rtc_fwd_len3200_factors_10_10_4_4_2_wgs_160_tpt_160_halfLds_dp_op_CI_CI_unitstride_sbrr_R2C_dirReg.kd
    .uniform_work_group_size: 1
    .uses_dynamic_stack: false
    .vgpr_count:     214
    .vgpr_spill_count: 0
    .wavefront_size: 32
    .workgroup_processor_mode: 1
amdhsa.target:   amdgcn-amd-amdhsa--gfx1201
amdhsa.version:
  - 1
  - 2
...

	.end_amdgpu_metadata
